;; amdgpu-corpus repo=ROCm/rocFFT kind=compiled arch=gfx1100 opt=O3
	.text
	.amdgcn_target "amdgcn-amd-amdhsa--gfx1100"
	.amdhsa_code_object_version 6
	.protected	bluestein_single_fwd_len1056_dim1_half_op_CI_CI ; -- Begin function bluestein_single_fwd_len1056_dim1_half_op_CI_CI
	.globl	bluestein_single_fwd_len1056_dim1_half_op_CI_CI
	.p2align	8
	.type	bluestein_single_fwd_len1056_dim1_half_op_CI_CI,@function
bluestein_single_fwd_len1056_dim1_half_op_CI_CI: ; @bluestein_single_fwd_len1056_dim1_half_op_CI_CI
; %bb.0:
	s_load_b128 s[16:19], s[0:1], 0x28
	v_mul_u32_u24_e32 v1, 0x175, v0
	s_mov_b32 s2, exec_lo
	v_mov_b32_e32 v13, 0
	s_delay_alu instid0(VALU_DEP_2) | instskip(NEXT) | instid1(VALU_DEP_1)
	v_lshrrev_b32_e32 v1, 16, v1
	v_add_nc_u32_e32 v12, s15, v1
	s_waitcnt lgkmcnt(0)
	s_delay_alu instid0(VALU_DEP_1)
	v_cmpx_gt_u64_e64 s[16:17], v[12:13]
	s_cbranch_execz .LBB0_10
; %bb.1:
	s_clause 0x1
	s_load_b128 s[4:7], s[0:1], 0x18
	s_load_b128 s[8:11], s[0:1], 0x0
	v_mul_lo_u16 v1, 0xb0, v1
                                        ; implicit-def: $vgpr70
                                        ; implicit-def: $vgpr72
                                        ; implicit-def: $vgpr71
                                        ; implicit-def: $vgpr73
                                        ; implicit-def: $vgpr69
                                        ; implicit-def: $vgpr74
	s_delay_alu instid0(VALU_DEP_1) | instskip(NEXT) | instid1(VALU_DEP_1)
	v_sub_nc_u16 v0, v0, v1
	v_and_b32_e32 v31, 0xffff, v0
	s_waitcnt lgkmcnt(0)
	s_load_b128 s[12:15], s[4:5], 0x0
	s_waitcnt lgkmcnt(0)
	v_mad_u64_u32 v[1:2], null, s14, v12, 0
	v_mad_u64_u32 v[3:4], null, s12, v31, 0
	s_mul_i32 s2, s13, 0x840
	s_mul_hi_u32 s3, s12, 0x840
	s_mul_i32 s4, s12, 0x840
	s_add_i32 s3, s3, s2
	s_mul_i32 s2, s13, 0xfffffa80
	s_delay_alu instid0(VALU_DEP_1) | instskip(SKIP_1) | instid1(VALU_DEP_1)
	v_mad_u64_u32 v[5:6], null, s15, v12, v[2:3]
	s_sub_i32 s2, s2, s12
	v_mov_b32_e32 v2, v5
	v_mad_u64_u32 v[6:7], null, s13, v31, v[4:5]
	v_lshlrev_b32_e32 v38, 2, v31
	v_lshlrev_b32_e32 v22, 3, v31
	s_delay_alu instid0(VALU_DEP_4)
	v_lshlrev_b64 v[1:2], 2, v[1:2]
	global_load_b32 v34, v38, s[8:9] offset:2112
	v_mov_b32_e32 v4, v6
	s_clause 0x1
	global_load_b32 v35, v38, s[8:9]
	global_load_b32 v32, v38, s[8:9] offset:704
	v_add_co_u32 v1, vcc_lo, s18, v1
	v_add_co_ci_u32_e32 v2, vcc_lo, s19, v2, vcc_lo
	v_lshlrev_b64 v[3:4], 2, v[3:4]
	v_add_nc_u32_e32 v10, 0xa00, v38
	s_delay_alu instid0(VALU_DEP_2) | instskip(NEXT) | instid1(VALU_DEP_3)
	v_add_co_u32 v1, vcc_lo, v1, v3
	v_add_co_ci_u32_e32 v2, vcc_lo, v2, v4, vcc_lo
	s_delay_alu instid0(VALU_DEP_2) | instskip(NEXT) | instid1(VALU_DEP_2)
	v_add_co_u32 v3, vcc_lo, v1, s4
	v_add_co_ci_u32_e32 v4, vcc_lo, s3, v2, vcc_lo
	global_load_b32 v9, v[1:2], off
	s_clause 0x2
	global_load_b32 v29, v38, s[8:9] offset:2816
	global_load_b32 v25, v38, s[8:9] offset:3520
	global_load_b32 v27, v38, s[8:9] offset:1408
	v_mad_u64_u32 v[5:6], null, 0xfffffa80, s12, v[3:4]
	s_delay_alu instid0(VALU_DEP_1) | instskip(NEXT) | instid1(VALU_DEP_2)
	v_add_nc_u32_e32 v6, s2, v6
	v_add_co_u32 v1, vcc_lo, v5, s4
	s_clause 0x1
	global_load_b32 v3, v[3:4], off
	global_load_b32 v4, v[5:6], off
	v_add_co_ci_u32_e32 v2, vcc_lo, s3, v6, vcc_lo
	s_delay_alu instid0(VALU_DEP_1) | instskip(SKIP_3) | instid1(VALU_DEP_2)
	v_mad_u64_u32 v[7:8], null, 0xfffffa80, s12, v[1:2]
	global_load_b32 v5, v[1:2], off
	v_add_nc_u32_e32 v8, s2, v8
	v_add_co_u32 v1, vcc_lo, v7, s4
	v_add_co_ci_u32_e32 v2, vcc_lo, s3, v8, vcc_lo
	global_load_b32 v6, v[7:8], off
	global_load_b32 v1, v[1:2], off
	s_load_b128 s[4:7], s[6:7], 0x0
	s_load_b64 s[2:3], s[0:1], 0x38
	v_cmp_gt_u16_e32 vcc_lo, 0x60, v0
	s_waitcnt vmcnt(11)
	v_lshrrev_b32_e32 v36, 16, v34
	s_waitcnt vmcnt(10)
	v_lshrrev_b32_e32 v37, 16, v35
	;; [unrolled: 2-line block ×4, first 2 shown]
	v_lshrrev_b32_e32 v2, 16, v9
	v_mul_f16_e32 v7, v37, v9
	s_waitcnt vmcnt(5)
	v_lshrrev_b32_e32 v28, 16, v27
	v_lshrrev_b32_e32 v26, 16, v25
	v_mul_f16_e32 v8, v37, v2
	v_fma_f16 v2, v35, v2, -v7
	s_delay_alu instid0(VALU_DEP_2)
	v_fmac_f16_e32 v8, v35, v9
	s_waitcnt vmcnt(4)
	v_lshrrev_b32_e32 v11, 16, v3
	v_mul_f16_e32 v13, v36, v3
	s_waitcnt vmcnt(3)
	v_lshrrev_b32_e32 v7, 16, v4
	v_pack_b32_f16 v2, v8, v2
	v_mul_f16_e32 v9, v36, v11
	v_fma_f16 v11, v34, v11, -v13
	v_mul_f16_e32 v13, v33, v4
	v_mul_f16_e32 v8, v33, v7
	s_delay_alu instid0(VALU_DEP_4)
	v_fmac_f16_e32 v9, v34, v3
	s_waitcnt vmcnt(2)
	v_lshrrev_b32_e32 v3, 16, v5
	v_fma_f16 v7, v32, v7, -v13
	v_mul_f16_e32 v13, v30, v5
	v_fmac_f16_e32 v8, v32, v4
	s_delay_alu instid0(VALU_DEP_4) | instskip(NEXT) | instid1(VALU_DEP_3)
	v_mul_f16_e32 v14, v30, v3
	v_fma_f16 v3, v29, v3, -v13
	s_delay_alu instid0(VALU_DEP_2)
	v_fmac_f16_e32 v14, v29, v5
	s_waitcnt vmcnt(1)
	v_lshrrev_b32_e32 v4, 16, v6
	s_waitcnt vmcnt(0)
	v_lshrrev_b32_e32 v15, 16, v1
	v_mul_f16_e32 v13, v28, v6
	v_mul_f16_e32 v17, v26, v1
	v_pack_b32_f16 v3, v14, v3
	v_mul_f16_e32 v16, v28, v4
	v_mul_f16_e32 v18, v26, v15
	v_fma_f16 v4, v27, v4, -v13
	v_fma_f16 v5, v25, v15, -v17
	v_lshlrev_b32_e32 v13, 1, v31
	v_fmac_f16_e32 v16, v27, v6
	v_fmac_f16_e32 v18, v25, v1
	v_pack_b32_f16 v1, v9, v11
	v_add_nc_u32_e32 v11, 0x500, v38
	v_pack_b32_f16 v6, v8, v7
	v_pack_b32_f16 v4, v16, v4
	;; [unrolled: 1-line block ×3, first 2 shown]
	ds_store_b32 v38, v1 offset:2112
	ds_store_2addr_b32 v38, v2, v6 offset1:176
	ds_store_b32 v38, v4 offset:1408
	ds_store_2addr_b32 v10, v3, v5 offset0:64 offset1:240
	s_waitcnt lgkmcnt(0)
	s_barrier
	buffer_gl0_inv
	ds_load_2addr_b32 v[1:2], v38 offset1:176
	ds_load_2addr_b32 v[3:4], v11 offset0:32 offset1:208
	ds_load_2addr_b32 v[5:6], v10 offset0:64 offset1:240
	v_and_b32_e32 v14, 1, v31
	v_lshlrev_b32_e32 v8, 2, v13
	s_waitcnt lgkmcnt(0)
	s_barrier
	buffer_gl0_inv
	v_lshlrev_b32_e32 v15, 2, v14
	v_add_nc_u32_e32 v16, 0x400, v8
	v_add_nc_u32_e32 v52, 0x160, v13
	;; [unrolled: 1-line block ×3, first 2 shown]
	v_pk_add_f16 v7, v1, v4 neg_lo:[0,1] neg_hi:[0,1]
	v_pk_add_f16 v5, v2, v5 neg_lo:[0,1] neg_hi:[0,1]
	;; [unrolled: 1-line block ×3, first 2 shown]
	s_delay_alu instid0(VALU_DEP_3) | instskip(NEXT) | instid1(VALU_DEP_3)
	v_pk_fma_f16 v6, v1, 2.0, v7 op_sel_hi:[1,0,1] neg_lo:[0,0,1] neg_hi:[0,0,1]
	v_pk_fma_f16 v4, v2, 2.0, v5 op_sel_hi:[1,0,1] neg_lo:[0,0,1] neg_hi:[0,0,1]
	s_delay_alu instid0(VALU_DEP_3)
	v_pk_fma_f16 v8, v3, 2.0, v9 op_sel_hi:[1,0,1] neg_lo:[0,0,1] neg_hi:[0,0,1]
	ds_store_b64 v22, v[6:7]
	ds_store_2addr_b64 v16, v[4:5], v[8:9] offset0:48 offset1:224
	s_waitcnt lgkmcnt(0)
	s_barrier
	buffer_gl0_inv
	global_load_b32 v21, v15, s[10:11]
	ds_load_2addr_b32 v[1:2], v38 offset1:176
	ds_load_2addr_b32 v[3:4], v11 offset0:32 offset1:208
	ds_load_2addr_b32 v[5:6], v10 offset0:64 offset1:240
	v_and_or_b32 v9, 0x3fc, v52, v14
	v_and_or_b32 v8, 0x1fc, v13, v14
	;; [unrolled: 1-line block ×3, first 2 shown]
	v_and_b32_e32 v7, 3, v31
	s_waitcnt vmcnt(0) lgkmcnt(0)
	v_lshlrev_b32_e32 v40, 2, v9
	v_lshlrev_b32_e32 v24, 2, v8
	;; [unrolled: 1-line block ×4, first 2 shown]
	s_barrier
	buffer_gl0_inv
	v_lshrrev_b32_e32 v8, 16, v1
	v_lshrrev_b32_e32 v9, 16, v4
	;; [unrolled: 1-line block ×7, first 2 shown]
	s_delay_alu instid0(VALU_DEP_1)
	v_mul_f16_e32 v19, v9, v46
	v_mul_f16_e32 v20, v4, v46
	;; [unrolled: 1-line block ×6, first 2 shown]
	v_fma_f16 v4, v4, v21, -v19
	v_fmac_f16_e32 v20, v9, v21
	v_fma_f16 v5, v5, v21, -v23
	v_fmac_f16_e32 v39, v16, v21
	;; [unrolled: 2-line block ×3, first 2 shown]
	v_sub_f16_e32 v4, v1, v4
	v_sub_f16_e32 v9, v8, v20
	;; [unrolled: 1-line block ×6, first 2 shown]
	v_fma_f16 v1, v1, 2.0, -v4
	v_fma_f16 v8, v8, 2.0, -v9
	;; [unrolled: 1-line block ×6, first 2 shown]
	v_pack_b32_f16 v4, v4, v9
	v_pack_b32_f16 v1, v1, v8
	v_pack_b32_f16 v5, v5, v16
	v_pack_b32_f16 v2, v2, v14
	v_pack_b32_f16 v6, v6, v18
	v_pack_b32_f16 v3, v3, v17
	ds_store_2addr_b32 v24, v1, v4 offset1:2
	ds_store_2addr_b32 v40, v2, v5 offset1:2
	;; [unrolled: 1-line block ×3, first 2 shown]
	s_waitcnt lgkmcnt(0)
	s_barrier
	buffer_gl0_inv
	global_load_b32 v23, v15, s[10:11] offset:8
	ds_load_2addr_b32 v[1:2], v38 offset1:176
	ds_load_2addr_b32 v[3:4], v11 offset0:32 offset1:208
	ds_load_2addr_b32 v[5:6], v10 offset0:64 offset1:240
	v_and_or_b32 v9, 0x1f8, v13, v7
	v_and_or_b32 v14, 0x3f8, v52, v7
	v_and_or_b32 v7, 0x7f8, v54, v7
	v_and_b32_e32 v8, 7, v31
	s_waitcnt vmcnt(0) lgkmcnt(0)
	v_lshlrev_b32_e32 v43, 2, v9
	v_lshlrev_b32_e32 v44, 2, v14
	v_lshlrev_b32_e32 v45, 2, v7
	v_lshlrev_b32_e32 v15, 2, v8
	s_barrier
	buffer_gl0_inv
	v_lshrrev_b32_e32 v7, 16, v1
	v_lshrrev_b32_e32 v9, 16, v4
	;; [unrolled: 1-line block ×7, first 2 shown]
	s_delay_alu instid0(VALU_DEP_1)
	v_mul_f16_e32 v19, v9, v50
	v_mul_f16_e32 v20, v4, v50
	v_mul_f16_e32 v39, v16, v50
	v_mul_f16_e32 v42, v5, v50
	v_mul_f16_e32 v47, v18, v50
	v_mul_f16_e32 v48, v6, v50
	v_fma_f16 v4, v4, v23, -v19
	v_fmac_f16_e32 v20, v9, v23
	v_fma_f16 v5, v5, v23, -v39
	v_fmac_f16_e32 v42, v16, v23
	;; [unrolled: 2-line block ×3, first 2 shown]
	v_sub_f16_e32 v4, v1, v4
	v_sub_f16_e32 v9, v7, v20
	;; [unrolled: 1-line block ×6, first 2 shown]
	v_fma_f16 v1, v1, 2.0, -v4
	v_fma_f16 v7, v7, 2.0, -v9
	;; [unrolled: 1-line block ×6, first 2 shown]
	v_pack_b32_f16 v4, v4, v9
	v_pack_b32_f16 v1, v1, v7
	;; [unrolled: 1-line block ×6, first 2 shown]
	ds_store_2addr_b32 v43, v1, v4 offset1:4
	ds_store_2addr_b32 v44, v2, v5 offset1:4
	;; [unrolled: 1-line block ×3, first 2 shown]
	s_waitcnt lgkmcnt(0)
	s_barrier
	buffer_gl0_inv
	global_load_b32 v42, v15, s[10:11] offset:24
	ds_load_2addr_b32 v[1:2], v38 offset1:176
	ds_load_2addr_b32 v[3:4], v11 offset0:32 offset1:208
	ds_load_2addr_b32 v[5:6], v10 offset0:64 offset1:240
	v_and_or_b32 v7, 0x1f0, v13, v8
	v_and_or_b32 v9, 0x3f0, v52, v8
	;; [unrolled: 1-line block ×3, first 2 shown]
	s_waitcnt vmcnt(0) lgkmcnt(0)
	s_barrier
	v_lshlrev_b32_e32 v47, 2, v7
	v_lshlrev_b32_e32 v48, 2, v9
	;; [unrolled: 1-line block ×3, first 2 shown]
	buffer_gl0_inv
                                        ; implicit-def: $vgpr19
	v_lshrrev_b32_e32 v0, 16, v1
	v_lshrrev_b32_e32 v7, 16, v4
	;; [unrolled: 1-line block ×7, first 2 shown]
	s_delay_alu instid0(VALU_DEP_1)
	v_mul_f16_e32 v10, v7, v51
	v_mul_f16_e32 v11, v4, v51
	;; [unrolled: 1-line block ×6, first 2 shown]
	v_fma_f16 v4, v4, v42, -v10
	v_fmac_f16_e32 v11, v7, v42
	v_fma_f16 v5, v5, v42, -v15
	v_fmac_f16_e32 v16, v8, v42
	;; [unrolled: 2-line block ×3, first 2 shown]
	v_sub_f16_e32 v9, v1, v4
	v_sub_f16_e32 v58, v0, v11
	;; [unrolled: 1-line block ×6, first 2 shown]
	v_fma_f16 v8, v1, 2.0, -v9
	v_fma_f16 v53, v0, 2.0, -v58
	;; [unrolled: 1-line block ×6, first 2 shown]
	v_pack_b32_f16 v0, v9, v58
	v_pack_b32_f16 v3, v8, v53
	;; [unrolled: 1-line block ×6, first 2 shown]
	ds_store_2addr_b32 v47, v3, v0 offset1:8
	ds_store_2addr_b32 v48, v4, v1 offset1:8
	;; [unrolled: 1-line block ×3, first 2 shown]
	s_waitcnt lgkmcnt(0)
	s_barrier
	buffer_gl0_inv
                                        ; implicit-def: $vgpr17
	s_and_saveexec_b32 s0, vcc_lo
	s_cbranch_execz .LBB0_3
; %bb.2:
	v_add_nc_u32_e32 v0, 0x200, v38
	v_add_nc_u32_e32 v1, 0x400, v38
	;; [unrolled: 1-line block ×3, first 2 shown]
	ds_load_2addr_b32 v[8:9], v38 offset1:96
	ds_load_2addr_b32 v[10:11], v0 offset0:64 offset1:160
	v_add_nc_u32_e32 v0, 0xc00, v38
	ds_load_2addr_b32 v[15:16], v1 offset0:128 offset1:224
	ds_load_2addr_b32 v[19:20], v2 offset0:64 offset1:160
	ds_load_2addr_b32 v[17:18], v0 offset1:96
	ds_load_b32 v69, v38 offset:3840
	s_waitcnt lgkmcnt(5)
	v_lshrrev_b32_e32 v53, 16, v8
	v_lshrrev_b32_e32 v58, 16, v9
	s_waitcnt lgkmcnt(4)
	v_lshrrev_b32_e32 v62, 16, v10
	v_lshrrev_b32_e32 v57, 16, v11
	;; [unrolled: 3-line block ×5, first 2 shown]
	s_waitcnt lgkmcnt(0)
	v_lshrrev_b32_e32 v74, 16, v69
.LBB0_3:
	s_or_b32 exec_lo, exec_lo, s0
	v_and_b32_e32 v39, 15, v31
	v_lshlrev_b32_e32 v76, 2, v52
	v_lshlrev_b32_e32 v75, 2, v54
	s_delay_alu instid0(VALU_DEP_3)
	v_mad_u64_u32 v[13:14], null, v39, 40, s[10:11]
	s_clause 0x2
	global_load_b128 v[4:7], v[13:14], off offset:56
	global_load_b128 v[0:3], v[13:14], off offset:72
	global_load_b64 v[13:14], v[13:14], off offset:88
	s_waitcnt vmcnt(0)
	s_barrier
	buffer_gl0_inv
	v_lshrrev_b32_e32 v67, 16, v4
	v_lshrrev_b32_e32 v65, 16, v5
	;; [unrolled: 1-line block ×7, first 2 shown]
	v_mul_f16_e32 v52, v58, v67
	v_mul_f16_e32 v86, v9, v67
	;; [unrolled: 1-line block ×4, first 2 shown]
	v_lshrrev_b32_e32 v55, 16, v1
	v_lshrrev_b32_e32 v61, 16, v2
	;; [unrolled: 1-line block ×3, first 2 shown]
	v_mul_f16_e32 v87, v62, v65
	v_mul_f16_e32 v85, v10, v65
	;; [unrolled: 1-line block ×7, first 2 shown]
	v_fma_f16 v88, v9, v4, -v52
	v_fmac_f16_e32 v86, v58, v4
	v_fma_f16 v9, v69, v14, -v96
	v_fmac_f16_e32 v77, v74, v14
	v_mul_f16_e32 v89, v57, v63
	v_mul_f16_e32 v83, v15, v60
	;; [unrolled: 1-line block ×7, first 2 shown]
	v_fma_f16 v87, v10, v5, -v87
	v_fmac_f16_e32 v85, v62, v5
	v_fmac_f16_e32 v84, v57, v6
	v_fma_f16 v58, v15, v7, -v90
	v_fma_f16 v57, v16, v0, -v91
	;; [unrolled: 1-line block ×3, first 2 shown]
	v_fmac_f16_e32 v78, v73, v13
	v_sub_f16_e32 v15, v88, v9
	v_sub_f16_e32 v16, v86, v77
	v_mul_f16_e32 v92, v70, v55
	v_mul_f16_e32 v93, v72, v61
	v_fma_f16 v62, v11, v6, -v89
	v_fmac_f16_e32 v83, v59, v7
	v_fmac_f16_e32 v82, v56, v0
	;; [unrolled: 1-line block ×4, first 2 shown]
	v_fma_f16 v11, v17, v3, -v94
	v_fmac_f16_e32 v79, v71, v3
	v_add_f16_e64 v143, v88, v9
	v_add_f16_e64 v144, v86, v77
	v_sub_f16_e32 v17, v87, v10
	v_sub_f16_e32 v18, v85, v78
	v_mul_f16_e32 v59, 0xb853, v16
	v_mul_f16_e32 v90, 0xb853, v15
	;; [unrolled: 1-line block ×6, first 2 shown]
	v_mul_f16_e64 v129, 0xb482, v16
	v_mul_f16_e32 v122, 0xbbeb, v15
	v_mul_f16_e64 v133, 0xba0c, v15
	v_mul_f16_e64 v146, 0xb482, v15
	v_fma_f16 v56, v19, v1, -v92
	v_fma_f16 v19, v20, v2, -v93
	v_add_f16_e64 v138, v87, v10
	v_add_f16_e64 v139, v85, v78
	v_sub_f16_e32 v52, v84, v79
	v_sub_f16_e32 v69, v83, v80
	;; [unrolled: 1-line block ×4, first 2 shown]
	v_mul_f16_e32 v89, 0xbb47, v18
	v_mul_f16_e32 v91, 0xbb47, v17
	;; [unrolled: 1-line block ×5, first 2 shown]
	v_mul_f16_e64 v131, 0x3853, v18
	v_mul_f16_e32 v110, 0xba0c, v17
	v_mul_f16_e32 v120, 0x3482, v17
	v_mul_f16_e64 v130, 0x3beb, v17
	v_mul_f16_e64 v145, 0x3853, v17
	v_fma_f16 v15, 0x36a6, v143, v102
	v_fma_f16 v16, 0xb08e, v143, v109
	;; [unrolled: 1-line block ×5, first 2 shown]
	v_fma_f16 v157, v144, 0x3abb, -v90
	v_fma_f16 v160, v144, 0x36a6, -v105
	;; [unrolled: 1-line block ×5, first 2 shown]
	v_add_f16_e64 v136, v62, v11
	v_add_f16_e64 v140, v84, v79
	v_sub_f16_e32 v72, v58, v19
	v_sub_f16_e32 v73, v57, v56
	v_mul_f16_e32 v100, 0x3482, v52
	v_mul_f16_e32 v106, 0x3b47, v52
	;; [unrolled: 1-line block ×3, first 2 shown]
	v_mul_f16_e64 v128, 0xba0c, v52
	v_mul_f16_e32 v98, 0x3beb, v69
	v_mul_f16_e32 v104, 0xb853, v69
	;; [unrolled: 1-line block ×12, first 2 shown]
	v_mul_f16_e64 v132, 0xb853, v71
	v_mul_f16_e64 v141, 0xba0c, v71
	v_mul_f16_e32 v94, 0xba0c, v69
	v_mul_f16_e32 v92, 0xb482, v70
	v_fma_f16 v52, 0xb93d, v138, v103
	v_fma_f16 v69, 0xbbad, v138, v111
	;; [unrolled: 1-line block ×5, first 2 shown]
	v_fma_f16 v159, v139, 0x36a6, -v91
	v_fma_f16 v161, v139, 0xb93d, -v110
	;; [unrolled: 1-line block ×5, first 2 shown]
	v_add_f16_e32 v15, v8, v15
	v_add_f16_e32 v16, v8, v16
	;; [unrolled: 1-line block ×4, first 2 shown]
	v_add_f16_e64 v156, v8, v156
	v_add_f16_e64 v157, v53, v157
	;; [unrolled: 1-line block ×8, first 2 shown]
	v_mul_f16_e32 v96, 0xba0c, v72
	v_mul_f16_e32 v108, 0x3beb, v72
	;; [unrolled: 1-line block ×4, first 2 shown]
	v_mul_f16_e64 v142, 0x3b47, v72
	v_mul_f16_e32 v95, 0xb482, v73
	v_mul_f16_e32 v101, 0x3853, v73
	v_mul_f16_e32 v115, 0xba0c, v73
	v_mul_f16_e32 v126, 0x3b47, v73
	v_mul_f16_e64 v137, 0xbbeb, v73
	v_fma_f16 v72, 0xbbad, v136, v100
	v_fma_f16 v73, 0x36a6, v136, v106
	;; [unrolled: 1-line block ×5, first 2 shown]
	v_fma_f16 v169, v140, 0xb08e, -v97
	v_fma_f16 v170, v140, 0xbbad, -v107
	;; [unrolled: 1-line block ×5, first 2 shown]
	v_add_f16_e32 v15, v52, v15
	v_add_f16_e32 v16, v69, v16
	;; [unrolled: 1-line block ×4, first 2 shown]
	v_add_f16_e64 v52, v158, v156
	v_add_f16_e64 v69, v159, v157
	;; [unrolled: 1-line block ×6, first 2 shown]
	v_add_f16_e32 v117, v57, v56
	v_add_f16_e32 v124, v82, v81
	v_fma_f16 v148, 0xb08e, v135, v98
	v_fma_f16 v149, 0x3abb, v135, v104
	;; [unrolled: 1-line block ×5, first 2 shown]
	v_fma_f16 v175, v134, 0xb93d, -v96
	v_fma_f16 v176, v134, 0xb08e, -v108
	;; [unrolled: 1-line block ×5, first 2 shown]
	v_add_f16_e32 v15, v72, v15
	v_add_f16_e32 v16, v73, v16
	;; [unrolled: 1-line block ×3, first 2 shown]
	v_add_f16_e64 v18, v147, v18
	v_add_f16_e64 v52, v168, v52
	;; [unrolled: 1-line block ×7, first 2 shown]
	v_fma_f16 v152, 0x3abb, v117, v20
	v_fma_f16 v153, 0xb93d, v117, v99
	;; [unrolled: 1-line block ×5, first 2 shown]
	v_fma_f16 v181, v124, 0xbbad, -v95
	v_fma_f16 v182, v124, 0x3abb, -v101
	;; [unrolled: 1-line block ×5, first 2 shown]
	v_add_f16_e64 v15, v148, v15
	v_add_f16_e64 v16, v149, v16
	;; [unrolled: 1-line block ×20, first 2 shown]
	v_lshrrev_b32_e32 v52, 4, v31
	s_and_saveexec_b32 s0, vcc_lo
	s_cbranch_execz .LBB0_5
; %bb.4:
	v_add_f16_e32 v88, v8, v88
	v_add_f16_e32 v86, v53, v86
	v_mul_f16_e64 v147, 0x3abb, v143
	v_mul_f16_e64 v148, 0x3abb, v144
	;; [unrolled: 1-line block ×3, first 2 shown]
	v_add_f16_e32 v87, v88, v87
	v_add_f16_e32 v85, v86, v85
	v_mul_f16_e64 v150, 0x36a6, v144
	v_mul_f16_e64 v151, 0xb08e, v143
	;; [unrolled: 1-line block ×7, first 2 shown]
	v_add_f16_e32 v62, v87, v62
	v_add_f16_e32 v84, v85, v84
	v_mul_f16_e64 v156, 0x36a6, v139
	v_sub_f16_e64 v129, v143, v129
	v_add_f16_e64 v144, v146, v144
	v_add_f16_e64 v133, v133, v154
	v_sub_f16_e64 v118, v153, v118
	v_add_f16_e64 v122, v122, v152
	v_sub_f16_e64 v109, v151, v109
	;; [unrolled: 2-line block ×4, first 2 shown]
	v_add_f16_e32 v58, v62, v58
	v_add_f16_e32 v62, v84, v83
	v_mul_f16_e64 v155, 0x36a6, v138
	v_mul_f16_e64 v159, 0xbbad, v138
	;; [unrolled: 1-line block ×3, first 2 shown]
	v_add_f16_e64 v144, v53, v144
	v_add_f16_e64 v129, v8, v129
	;; [unrolled: 1-line block ×3, first 2 shown]
	v_add_f16_e32 v118, v8, v118
	v_add_f16_e32 v122, v53, v122
	v_add_f16_e32 v109, v8, v109
	v_add_f16_e32 v105, v53, v105
	v_add_f16_e32 v102, v8, v102
	v_add_f16_e32 v53, v53, v87
	v_add_f16_e64 v83, v91, v156
	v_add_f16_e32 v8, v8, v59
	v_add_f16_e32 v57, v58, v57
	;; [unrolled: 1-line block ×3, first 2 shown]
	v_mul_f16_e64 v157, 0xb93d, v138
	v_mul_f16_e64 v161, 0xb08e, v138
	;; [unrolled: 1-line block ×8, first 2 shown]
	v_sub_f16_e64 v111, v159, v111
	v_sub_f16_e64 v58, v155, v89
	v_add_f16_e32 v53, v83, v53
	v_add_f16_e64 v62, v97, v164
	v_add_f16_e32 v56, v57, v56
	v_add_f16_e32 v57, v59, v81
	v_mul_f16_e64 v162, 0xb08e, v139
	v_mul_f16_e64 v139, 0x3abb, v139
	;; [unrolled: 1-line block ×5, first 2 shown]
	v_sub_f16_e64 v131, v138, v131
	v_mul_f16_e64 v166, 0xbbad, v140
	v_mul_f16_e64 v168, 0x36a6, v140
	;; [unrolled: 1-line block ×4, first 2 shown]
	v_sub_f16_e64 v116, v161, v116
	v_add_f16_e64 v120, v120, v160
	v_add_f16_e32 v109, v111, v109
	v_sub_f16_e64 v106, v167, v106
	v_add_f16_e64 v110, v110, v158
	v_sub_f16_e64 v103, v157, v103
	v_add_f16_e32 v8, v58, v8
	v_sub_f16_e64 v58, v163, v93
	v_add_f16_e32 v53, v62, v53
	v_add_f16_e32 v19, v56, v19
	v_add_f16_e64 v56, v96, v172
	v_add_f16_e32 v57, v57, v80
	v_mul_f16_e64 v170, 0x3abb, v140
	v_mul_f16_e64 v140, 0xb93d, v140
	v_add_f16_e64 v139, v145, v139
	v_add_f16_e64 v129, v131, v129
	v_sub_f16_e64 v128, v136, v128
	v_add_f16_e64 v130, v130, v162
	v_mul_f16_e64 v173, 0xb08e, v135
	v_mul_f16_e64 v174, 0xb08e, v134
	v_mul_f16_e64 v176, 0x3abb, v134
	v_mul_f16_e64 v177, 0xbbad, v135
	v_mul_f16_e64 v146, 0xbbad, v117
	v_mul_f16_e64 v179, 0xbbad, v124
	v_add_f16_e32 v116, v116, v118
	v_sub_f16_e64 v114, v169, v114
	v_add_f16_e32 v118, v120, v122
	v_add_f16_e64 v120, v121, v168
	v_add_f16_e32 v106, v106, v109
	v_sub_f16_e64 v104, v175, v104
	v_add_f16_e32 v105, v110, v105
	v_add_f16_e64 v107, v107, v166
	v_add_f16_e32 v102, v103, v102
	v_sub_f16_e64 v100, v165, v100
	v_add_f16_e32 v8, v58, v8
	v_sub_f16_e64 v58, v171, v94
	v_add_f16_e32 v11, v19, v11
	v_add_f16_e32 v19, v56, v53
	;; [unrolled: 1-line block ×3, first 2 shown]
	v_mul_f16_e64 v178, 0xbbad, v134
	v_mul_f16_e64 v135, 0x36a6, v135
	v_mul_f16_e64 v134, 0x36a6, v134
	v_mul_f16_e64 v180, 0x3abb, v117
	v_mul_f16_e64 v181, 0xb93d, v117
	v_add_f16_e64 v139, v139, v144
	v_add_f16_e64 v140, v141, v140
	v_mul_f16_e64 v141, 0x36a6, v117
	v_add_f16_e64 v128, v128, v129
	v_mul_f16_e32 v117, 0xb08e, v117
	v_add_f16_e64 v129, v130, v133
	v_add_f16_e64 v130, v132, v170
	v_mul_f16_e64 v145, 0x3abb, v124
	v_mul_f16_e64 v182, 0xb93d, v124
	v_add_f16_e32 v114, v114, v116
	v_sub_f16_e64 v113, v177, v113
	v_add_f16_e32 v116, v120, v118
	v_add_f16_e64 v118, v119, v176
	v_add_f16_e32 v104, v104, v106
	v_add_f16_e32 v105, v107, v105
	v_add_f16_e64 v106, v108, v174
	v_add_f16_e32 v88, v100, v102
	v_sub_f16_e64 v86, v173, v98
	v_add_f16_e64 v56, v95, v179
	v_add_f16_e32 v8, v58, v8
	v_add_f16_e32 v10, v11, v10
	v_mul_u32_u24_e32 v11, 0xb0, v52
	v_add_f16_e32 v53, v53, v78
	v_sub_f16_e64 v57, v146, v92
	v_mul_f16_e64 v143, 0x36a6, v124
	v_add_f16_e64 v138, v140, v139
	v_add_f16_e64 v134, v142, v134
	v_mul_f16_e32 v124, 0xb08e, v124
	v_sub_f16_e64 v127, v135, v127
	v_sub_f16_e32 v117, v117, v123
	v_add_f16_e64 v123, v130, v129
	v_add_f16_e64 v125, v125, v178
	v_add_f16_e32 v113, v113, v114
	v_add_f16_e32 v114, v118, v116
	v_add_f16_e64 v111, v115, v182
	v_sub_f16_e64 v99, v181, v99
	v_add_f16_e32 v103, v106, v105
	v_add_f16_e64 v98, v101, v145
	v_add_f16_e32 v85, v86, v88
	v_add_f16_e32 v19, v56, v19
	;; [unrolled: 1-line block ×3, first 2 shown]
	v_or_b32_e32 v10, v11, v39
	v_add_f16_e32 v11, v53, v77
	v_add_f16_e32 v8, v57, v8
	v_sub_f16_e64 v20, v180, v20
	v_add_f16_e64 v131, v134, v138
	v_add_f16_e64 v124, v137, v124
	;; [unrolled: 1-line block ×3, first 2 shown]
	v_add_f16_e32 v123, v125, v123
	v_add_f16_e64 v125, v126, v143
	v_sub_f16_e64 v112, v141, v112
	v_add_f16_e32 v109, v111, v114
	v_add_f16_e32 v53, v98, v103
	v_lshlrev_b32_e32 v10, 2, v10
	v_pack_b32_f16 v9, v9, v11
	v_pack_b32_f16 v8, v8, v19
	v_add_f16_e32 v11, v20, v85
	v_add_f16_e32 v19, v99, v104
	v_add_f16_e64 v124, v124, v131
	v_add_f16_e32 v121, v125, v123
	v_add_f16_e32 v20, v112, v113
	;; [unrolled: 1-line block ×3, first 2 shown]
	ds_store_2addr_b32 v10, v9, v8 offset1:16
	v_pack_b32_f16 v8, v11, v53
	v_pack_b32_f16 v9, v19, v109
	;; [unrolled: 1-line block ×4, first 2 shown]
	v_perm_b32 v20, v69, v15, 0x5040100
	v_perm_b32 v53, v70, v16, 0x5040100
	;; [unrolled: 1-line block ×5, first 2 shown]
	ds_store_2addr_b32 v10, v8, v9 offset0:32 offset1:48
	ds_store_2addr_b32 v10, v11, v19 offset0:64 offset1:80
	;; [unrolled: 1-line block ×4, first 2 shown]
	ds_store_b32 v10, v58 offset:640
.LBB0_5:
	s_or_b32 exec_lo, exec_lo, s0
	v_mad_u64_u32 v[19:20], null, v31, 20, s[10:11]
	s_waitcnt lgkmcnt(0)
	s_barrier
	buffer_gl0_inv
	v_add_nc_u32_e32 v86, 0x500, v38
	v_add_nc_u32_e32 v87, 0xa00, v38
	v_add_co_u32 v81, s0, s8, v38
	s_clause 0x1
	global_load_b128 v[8:11], v[19:20], off offset:696
	global_load_b32 v53, v[19:20], off offset:712
	ds_load_2addr_b32 v[19:20], v38 offset1:176
	ds_load_2addr_b32 v[77:78], v86 offset0:32 offset1:208
	ds_load_2addr_b32 v[79:80], v87 offset0:64 offset1:240
	v_add_co_ci_u32_e64 v82, null, s9, 0, s0
	s_waitcnt lgkmcnt(2)
	v_lshrrev_b32_e32 v84, 16, v20
	s_waitcnt lgkmcnt(1)
	v_lshrrev_b32_e32 v85, 16, v77
	v_lshrrev_b32_e32 v88, 16, v78
	s_waitcnt lgkmcnt(0)
	v_lshrrev_b32_e32 v89, 16, v79
	v_lshrrev_b32_e32 v90, 16, v80
	;; [unrolled: 1-line block ×3, first 2 shown]
	s_waitcnt vmcnt(1)
	v_lshrrev_b32_e32 v62, 16, v8
	v_lshrrev_b32_e32 v59, 16, v9
	;; [unrolled: 1-line block ×4, first 2 shown]
	s_waitcnt vmcnt(0)
	v_lshrrev_b32_e32 v56, 16, v53
	v_mul_f16_e32 v92, v20, v62
	v_mul_f16_e32 v93, v85, v59
	;; [unrolled: 1-line block ×10, first 2 shown]
	v_fmac_f16_e32 v92, v84, v8
	v_fma_f16 v77, v77, v9, -v93
	v_fmac_f16_e32 v94, v85, v9
	v_fma_f16 v78, v78, v10, -v95
	;; [unrolled: 2-line block ×5, first 2 shown]
	v_add_f16_e32 v85, v77, v79
	v_sub_f16_e32 v88, v94, v98
	v_add_f16_e32 v89, v83, v94
	v_add_f16_e32 v90, v94, v98
	;; [unrolled: 1-line block ×3, first 2 shown]
	v_sub_f16_e32 v94, v96, v100
	v_add_f16_e32 v95, v92, v96
	v_add_f16_e32 v96, v96, v100
	;; [unrolled: 1-line block ×3, first 2 shown]
	v_sub_f16_e32 v77, v77, v79
	v_add_f16_e32 v91, v20, v78
	v_sub_f16_e32 v78, v78, v80
	v_fmac_f16_e32 v19, -0.5, v85
	v_fmac_f16_e32 v83, -0.5, v90
	;; [unrolled: 1-line block ×4, first 2 shown]
	v_add_f16_e32 v79, v84, v79
	v_add_f16_e32 v84, v89, v98
	v_fmamk_f16 v89, v88, 0x3aee, v19
	v_fmac_f16_e32 v19, 0xbaee, v88
	v_fmamk_f16 v88, v77, 0xbaee, v83
	v_fmac_f16_e32 v83, 0x3aee, v77
	;; [unrolled: 2-line block ×4, first 2 shown]
	v_add_f16_e32 v80, v91, v80
	v_add_f16_e32 v85, v95, v100
	v_mul_f16_e32 v93, -0.5, v20
	v_mul_f16_e32 v94, 0xbaee, v77
	v_mul_f16_e32 v95, -0.5, v92
	v_add_f16_e32 v78, v79, v80
	v_sub_f16_e32 v79, v79, v80
	v_mul_f16_e32 v80, 0x3aee, v90
	v_add_f16_e32 v91, v84, v85
	v_fmac_f16_e32 v93, 0x3aee, v92
	v_fmac_f16_e32 v95, 0xbaee, v20
	v_fmac_f16_e32 v94, 0.5, v90
	v_fmac_f16_e32 v80, 0.5, v77
	v_pack_b32_f16 v77, v78, v91
	v_add_f16_e32 v78, v19, v93
	v_add_f16_e32 v90, v83, v95
	v_sub_f16_e32 v19, v19, v93
	v_sub_f16_e32 v83, v83, v95
	;; [unrolled: 1-line block ×3, first 2 shown]
	v_add_f16_e32 v20, v89, v80
	v_add_f16_e32 v85, v88, v94
	v_sub_f16_e32 v80, v89, v80
	v_sub_f16_e32 v88, v88, v94
	v_pack_b32_f16 v83, v19, v83
	v_add_co_u32 v19, s0, 0x1000, v81
	v_pack_b32_f16 v79, v79, v84
	v_pack_b32_f16 v84, v20, v85
	v_add_co_ci_u32_e64 v20, s0, 0, v82, s0
	v_pack_b32_f16 v78, v78, v90
	v_pack_b32_f16 v80, v80, v88
	ds_store_2addr_b32 v38, v77, v84 offset1:176
	ds_store_2addr_b32 v86, v78, v79 offset0:32 offset1:208
	ds_store_2addr_b32 v87, v80, v83 offset0:64 offset1:240
	s_waitcnt lgkmcnt(0)
	s_barrier
	buffer_gl0_inv
	global_load_b32 v77, v[19:20], off offset:128
	v_add_co_u32 v19, s0, 0x1080, v81
	s_delay_alu instid0(VALU_DEP_1)
	v_add_co_ci_u32_e64 v20, s0, 0, v82, s0
	s_clause 0x4
	global_load_b32 v83, v[19:20], off offset:704
	global_load_b32 v84, v[19:20], off offset:2112
	;; [unrolled: 1-line block ×5, first 2 shown]
	ds_load_2addr_b32 v[19:20], v38 offset1:176
	s_waitcnt lgkmcnt(0)
	v_lshrrev_b32_e32 v78, 16, v19
	s_waitcnt vmcnt(5)
	v_lshrrev_b32_e32 v79, 16, v77
	s_waitcnt vmcnt(4)
	v_lshrrev_b32_e32 v90, 16, v83
	s_delay_alu instid0(VALU_DEP_2)
	v_mul_f16_e32 v80, v78, v79
	v_mul_f16_e32 v79, v19, v79
	s_waitcnt vmcnt(3)
	v_lshrrev_b32_e32 v91, 16, v84
	s_waitcnt vmcnt(2)
	v_lshrrev_b32_e32 v93, 16, v85
	;; [unrolled: 2-line block ×3, first 2 shown]
	v_fma_f16 v19, v19, v77, -v80
	v_fmac_f16_e32 v79, v78, v77
	v_lshrrev_b32_e32 v95, 16, v88
	v_add_nc_u32_e32 v77, 0x800, v38
	v_add_nc_u32_e32 v78, 0x200, v38
	s_delay_alu instid0(VALU_DEP_4) | instskip(SKIP_4) | instid1(VALU_DEP_1)
	v_pack_b32_f16 v19, v19, v79
	ds_store_b32 v38, v19
	ds_load_2addr_b32 v[79:80], v86 offset0:32 offset1:208
	ds_load_2addr_b32 v[81:82], v87 offset0:64 offset1:240
	v_lshrrev_b32_e32 v19, 16, v20
	v_mul_f16_e32 v92, v19, v90
	v_mul_f16_e32 v90, v20, v90
	s_delay_alu instid0(VALU_DEP_2) | instskip(NEXT) | instid1(VALU_DEP_2)
	v_fma_f16 v20, v20, v83, -v92
	v_fmac_f16_e32 v90, v19, v83
	s_delay_alu instid0(VALU_DEP_1)
	v_pack_b32_f16 v20, v20, v90
	s_waitcnt lgkmcnt(1)
	v_lshrrev_b32_e32 v19, 16, v80
	v_mul_f16_e32 v83, v80, v91
	s_waitcnt lgkmcnt(0)
	v_lshrrev_b32_e32 v92, 16, v81
	v_mul_f16_e32 v96, v81, v93
	v_lshrrev_b32_e32 v97, 16, v79
	v_lshrrev_b32_e32 v99, 16, v82
	v_mul_f16_e32 v91, v19, v91
	v_fmac_f16_e32 v83, v19, v84
	v_mul_f16_e32 v19, v92, v93
	v_mul_f16_e32 v98, v79, v94
	v_fmac_f16_e32 v96, v92, v85
	v_mul_f16_e32 v92, v97, v94
	v_mul_f16_e32 v100, v82, v95
	;; [unrolled: 1-line block ×3, first 2 shown]
	v_fma_f16 v80, v80, v84, -v91
	v_fma_f16 v19, v81, v85, -v19
	v_fmac_f16_e32 v98, v97, v89
	v_fma_f16 v79, v79, v89, -v92
	v_fmac_f16_e32 v100, v99, v88
	v_fma_f16 v81, v82, v88, -v93
	v_pack_b32_f16 v80, v80, v83
	v_pack_b32_f16 v19, v19, v96
	;; [unrolled: 1-line block ×3, first 2 shown]
	s_delay_alu instid0(VALU_DEP_4)
	v_pack_b32_f16 v81, v81, v100
	ds_store_2addr_b32 v77, v80, v19 offset0:16 offset1:192
	ds_store_2addr_b32 v78, v20, v79 offset0:48 offset1:224
	ds_store_b32 v38, v81 offset:3520
	s_waitcnt lgkmcnt(0)
	s_barrier
	buffer_gl0_inv
	ds_load_2addr_b32 v[19:20], v38 offset1:176
	ds_load_2addr_b32 v[79:80], v86 offset0:32 offset1:208
	ds_load_2addr_b32 v[81:82], v87 offset0:64 offset1:240
	s_waitcnt lgkmcnt(0)
	s_barrier
	buffer_gl0_inv
	v_pk_add_f16 v83, v19, v80 neg_lo:[0,1] neg_hi:[0,1]
	v_pk_add_f16 v81, v20, v81 neg_lo:[0,1] neg_hi:[0,1]
	;; [unrolled: 1-line block ×3, first 2 shown]
	s_delay_alu instid0(VALU_DEP_3) | instskip(NEXT) | instid1(VALU_DEP_3)
	v_pk_fma_f16 v82, v19, 2.0, v83 op_sel_hi:[1,0,1] neg_lo:[0,0,1] neg_hi:[0,0,1]
	v_pk_fma_f16 v80, v20, 2.0, v81 op_sel_hi:[1,0,1] neg_lo:[0,0,1] neg_hi:[0,0,1]
	s_delay_alu instid0(VALU_DEP_3)
	v_pk_fma_f16 v84, v79, 2.0, v85 op_sel_hi:[1,0,1] neg_lo:[0,0,1] neg_hi:[0,0,1]
	ds_store_b64 v22, v[82:83]
	ds_store_b64 v76, v[80:81]
	;; [unrolled: 1-line block ×3, first 2 shown]
	s_waitcnt lgkmcnt(0)
	s_barrier
	buffer_gl0_inv
	ds_load_2addr_b32 v[19:20], v38 offset1:176
	ds_load_2addr_b32 v[75:76], v86 offset0:32 offset1:208
	ds_load_2addr_b32 v[79:80], v87 offset0:64 offset1:240
	s_waitcnt lgkmcnt(0)
	s_barrier
	buffer_gl0_inv
	v_lshrrev_b32_e32 v22, 16, v19
	v_lshrrev_b32_e32 v81, 16, v76
	;; [unrolled: 1-line block ×3, first 2 shown]
	v_mul_f16_e32 v85, v46, v76
	v_lshrrev_b32_e32 v88, 16, v80
	v_mul_f16_e32 v89, v46, v79
	v_mul_f16_e32 v91, v46, v81
	;; [unrolled: 1-line block ×3, first 2 shown]
	v_fma_f16 v81, v21, v81, -v85
	v_mul_f16_e32 v85, v46, v83
	v_mul_f16_e32 v46, v46, v88
	v_fmac_f16_e32 v91, v21, v76
	v_lshrrev_b32_e32 v82, 16, v20
	v_fma_f16 v83, v21, v83, -v89
	v_fmac_f16_e32 v85, v21, v79
	v_lshrrev_b32_e32 v84, 16, v75
	v_fma_f16 v88, v21, v88, -v90
	v_fmac_f16_e32 v46, v21, v80
	v_sub_f16_e32 v76, v22, v81
	v_sub_f16_e32 v80, v19, v91
	;; [unrolled: 1-line block ×6, first 2 shown]
	v_fma_f16 v22, v22, 2.0, -v76
	v_fma_f16 v19, v19, 2.0, -v80
	;; [unrolled: 1-line block ×6, first 2 shown]
	v_pack_b32_f16 v76, v80, v76
	v_pack_b32_f16 v19, v19, v22
	;; [unrolled: 1-line block ×6, first 2 shown]
	ds_store_2addr_b32 v24, v19, v76 offset1:2
	ds_store_2addr_b32 v40, v20, v21 offset1:2
	;; [unrolled: 1-line block ×3, first 2 shown]
	s_waitcnt lgkmcnt(0)
	s_barrier
	buffer_gl0_inv
	ds_load_2addr_b32 v[19:20], v38 offset1:176
	ds_load_2addr_b32 v[21:22], v86 offset0:32 offset1:208
	ds_load_2addr_b32 v[40:41], v87 offset0:64 offset1:240
	s_waitcnt lgkmcnt(0)
	s_barrier
	buffer_gl0_inv
	v_lshrrev_b32_e32 v24, 16, v19
	v_lshrrev_b32_e32 v46, 16, v22
	;; [unrolled: 1-line block ×3, first 2 shown]
	v_mul_f16_e32 v80, v50, v22
	v_lshrrev_b32_e32 v81, 16, v41
	v_mul_f16_e32 v82, v50, v40
	v_mul_f16_e32 v84, v50, v46
	;; [unrolled: 1-line block ×3, first 2 shown]
	v_fma_f16 v46, v23, v46, -v80
	v_mul_f16_e32 v80, v50, v76
	v_mul_f16_e32 v50, v50, v81
	v_fmac_f16_e32 v84, v23, v22
	v_lshrrev_b32_e32 v75, 16, v20
	v_fma_f16 v76, v23, v76, -v82
	v_fmac_f16_e32 v80, v23, v40
	v_lshrrev_b32_e32 v79, 16, v21
	v_fma_f16 v81, v23, v81, -v83
	v_fmac_f16_e32 v50, v23, v41
	v_sub_f16_e32 v22, v24, v46
	v_sub_f16_e32 v41, v19, v84
	;; [unrolled: 1-line block ×6, first 2 shown]
	v_fma_f16 v24, v24, 2.0, -v22
	v_fma_f16 v19, v19, 2.0, -v41
	;; [unrolled: 1-line block ×6, first 2 shown]
	v_pack_b32_f16 v22, v41, v22
	v_pack_b32_f16 v19, v19, v24
	;; [unrolled: 1-line block ×6, first 2 shown]
	ds_store_2addr_b32 v43, v19, v22 offset1:4
	ds_store_2addr_b32 v44, v20, v23 offset1:4
	;; [unrolled: 1-line block ×3, first 2 shown]
	s_waitcnt lgkmcnt(0)
	s_barrier
	buffer_gl0_inv
	ds_load_2addr_b32 v[75:76], v38 offset1:176
	ds_load_2addr_b32 v[21:22], v86 offset0:32 offset1:208
	ds_load_2addr_b32 v[19:20], v87 offset0:64 offset1:240
	s_waitcnt lgkmcnt(0)
	s_barrier
	buffer_gl0_inv
	v_lshrrev_b32_e32 v23, 16, v75
	v_lshrrev_b32_e32 v24, 16, v22
	v_lshrrev_b32_e32 v40, 16, v19
	v_lshrrev_b32_e32 v43, 16, v20
	v_mul_f16_e32 v41, v51, v22
	v_mul_f16_e32 v45, v51, v19
	;; [unrolled: 1-line block ×6, first 2 shown]
	v_fma_f16 v24, v42, v24, -v41
	v_fmac_f16_e32 v79, v42, v22
	v_lshrrev_b32_e32 v44, 16, v76
	v_fma_f16 v40, v42, v40, -v45
	v_fmac_f16_e32 v80, v42, v19
	v_lshrrev_b32_e32 v46, 16, v21
	v_fma_f16 v41, v42, v43, -v50
	v_fmac_f16_e32 v51, v42, v20
	v_sub_f16_e32 v45, v23, v24
	v_sub_f16_e32 v20, v75, v79
	;; [unrolled: 1-line block ×6, first 2 shown]
	v_fma_f16 v40, v23, 2.0, -v45
	v_fma_f16 v19, v75, 2.0, -v20
	;; [unrolled: 1-line block ×6, first 2 shown]
	v_pack_b32_f16 v46, v20, v45
	v_pack_b32_f16 v75, v19, v40
	;; [unrolled: 1-line block ×6, first 2 shown]
	ds_store_2addr_b32 v47, v75, v46 offset1:8
	ds_store_2addr_b32 v48, v76, v50 offset1:8
	;; [unrolled: 1-line block ×3, first 2 shown]
	s_waitcnt lgkmcnt(0)
	s_barrier
	buffer_gl0_inv
	s_and_saveexec_b32 s0, vcc_lo
	s_cbranch_execz .LBB0_7
; %bb.6:
	v_add_nc_u32_e32 v17, 0x400, v38
	v_add_nc_u32_e32 v18, 0xc00, v38
	ds_load_2addr_b32 v[19:20], v38 offset1:96
	ds_load_2addr_b32 v[23:24], v78 offset0:64 offset1:160
	ds_load_2addr_b32 v[15:16], v77 offset0:64 offset1:160
	;; [unrolled: 1-line block ×3, first 2 shown]
	ds_load_2addr_b32 v[17:18], v18 offset1:96
	ds_load_b32 v72, v38 offset:3840
	s_waitcnt lgkmcnt(3)
	v_lshrrev_b32_e32 v69, 16, v15
	v_lshrrev_b32_e32 v40, 16, v19
	;; [unrolled: 1-line block ×6, first 2 shown]
	s_waitcnt lgkmcnt(2)
	v_lshrrev_b32_e32 v42, 16, v21
	v_lshrrev_b32_e32 v41, 16, v22
	s_waitcnt lgkmcnt(1)
	v_lshrrev_b32_e32 v71, 16, v17
	v_lshrrev_b32_e32 v73, 16, v18
	s_waitcnt lgkmcnt(0)
	v_lshrrev_b32_e32 v74, 16, v72
.LBB0_7:
	s_or_b32 exec_lo, exec_lo, s0
	s_barrier
	buffer_gl0_inv
	s_and_saveexec_b32 s0, vcc_lo
	s_cbranch_execz .LBB0_9
; %bb.8:
	v_mul_f16_e32 v47, v67, v20
	v_mul_f16_e32 v46, v68, v72
	;; [unrolled: 1-line block ×5, first 2 shown]
	v_fma_f16 v45, v4, v45, -v47
	v_mul_f16_e32 v47, v66, v18
	v_fma_f16 v46, v14, v74, -v46
	v_fmac_f16_e32 v48, v4, v20
	v_fmac_f16_e32 v49, v14, v72
	v_mul_f16_e32 v68, v60, v21
	v_fma_f16 v20, v13, v73, -v47
	v_fma_f16 v47, v5, v44, -v50
	v_mul_f16_e32 v44, v65, v44
	v_mul_f16_e32 v50, v66, v73
	v_add_f16_e32 v14, v46, v45
	v_sub_f16_e32 v65, v48, v49
	v_add_f16_e32 v66, v20, v47
	v_fmac_f16_e32 v44, v5, v23
	v_fmac_f16_e32 v50, v13, v18
	v_mul_f16_e32 v18, v64, v17
	v_mul_f16_e32 v23, v63, v24
	;; [unrolled: 1-line block ×4, first 2 shown]
	v_sub_f16_e32 v4, v44, v50
	v_fma_f16 v18, v3, v71, -v18
	v_fma_f16 v23, v6, v43, -v23
	v_mul_f16_e32 v43, v63, v43
	v_mul_f16_e32 v63, v64, v71
	;; [unrolled: 1-line block ×3, first 2 shown]
	v_fmamk_f16 v5, v65, 0x3482, v51
	v_add_f16_e32 v71, v18, v23
	v_fmac_f16_e32 v43, v6, v24
	v_fmac_f16_e32 v63, v3, v17
	v_fma_f16 v3, v2, v70, -v64
	v_fma_f16 v6, v7, v42, -v68
	v_mul_f16_e32 v17, v60, v42
	v_mul_f16_e32 v24, v61, v70
	v_add_f16_e32 v5, v40, v5
	v_fmamk_f16 v67, v4, 0xb853, v13
	v_mul_f16_e32 v42, 0xb93d, v71
	v_sub_f16_e32 v60, v43, v63
	v_add_f16_e32 v61, v3, v6
	v_fmac_f16_e32 v17, v7, v21
	v_fmac_f16_e32 v24, v2, v16
	v_add_f16_e32 v2, v67, v5
	v_fmamk_f16 v5, v60, 0x3a0c, v42
	v_mul_f16_e32 v7, 0x36a6, v61
	v_mul_f16_e32 v21, v55, v15
	v_sub_f16_e32 v16, v17, v24
	v_mul_f16_e32 v64, v54, v22
	v_add_f16_e32 v2, v5, v2
	v_sub_f16_e32 v70, v23, v18
	v_add_f16_e32 v74, v63, v43
	v_fmamk_f16 v5, v16, 0xbb47, v7
	v_fma_f16 v64, v0, v41, -v64
	v_mul_f16_e32 v41, v54, v41
	v_mul_f16_e32 v54, v55, v69
	v_add_f16_e32 v55, v49, v48
	v_add_f16_e32 v2, v5, v2
	v_fma_f16 v5, v1, v69, -v21
	v_sub_f16_e32 v21, v45, v46
	v_sub_f16_e32 v69, v47, v20
	v_fmac_f16_e32 v41, v0, v22
	v_fmac_f16_e32 v54, v1, v15
	v_add_f16_e32 v1, v50, v44
	v_mul_f16_e32 v67, 0xb482, v21
	v_mul_f16_e32 v15, 0x3853, v69
	;; [unrolled: 1-line block ×3, first 2 shown]
	v_add_f16_e32 v78, v24, v17
	v_add_f16_e32 v83, v54, v41
	v_fmamk_f16 v0, v55, 0xbbad, v67
	v_fmamk_f16 v73, v1, 0x3abb, v15
	v_fmamk_f16 v77, v74, 0xb93d, v75
	v_mul_f16_e32 v87, 0xba0c, v21
	v_mul_f16_e32 v89, 0x3beb, v69
	v_add_f16_e32 v0, v19, v0
	v_mul_f16_e32 v92, 0xb853, v70
	v_mul_f16_e32 v99, 0xbbeb, v21
	;; [unrolled: 1-line block ×3, first 2 shown]
	v_fmamk_f16 v91, v1, 0xb08e, v89
	v_add_f16_e32 v0, v73, v0
	v_sub_f16_e32 v73, v6, v3
	v_mul_f16_e32 v104, 0x3b47, v70
	v_fmamk_f16 v103, v1, 0xbbad, v101
	v_add_f16_e32 v68, v5, v64
	v_add_f16_e32 v0, v77, v0
	v_mul_f16_e32 v79, 0x3b47, v73
	v_sub_f16_e32 v77, v64, v5
	v_mul_f16_e32 v94, 0xb482, v73
	v_mul_f16_e32 v106, 0xb853, v73
	v_mul_f16_e32 v22, 0xb08e, v68
	v_fmamk_f16 v82, v78, 0x36a6, v79
	v_mul_f16_e32 v84, 0xbbeb, v77
	v_mul_f16_e32 v96, 0x3b47, v77
	v_sub_f16_e32 v72, v41, v54
	v_mul_f16_e32 v108, 0xba0c, v77
	v_add_f16_e32 v0, v82, v0
	v_fmamk_f16 v82, v83, 0xb08e, v84
	v_mul_f16_e32 v114, 0xba0c, v69
	v_fmamk_f16 v76, v72, 0x3beb, v22
	v_fmamk_f16 v111, v83, 0xb93d, v108
	v_mul_f16_e32 v93, 0xb08e, v14
	v_add_f16_e32 v0, v82, v0
	v_fmamk_f16 v82, v55, 0xb93d, v87
	v_add_f16_e32 v2, v76, v2
	v_mul_f16_e32 v76, 0xb93d, v14
	v_mul_f16_e32 v105, 0x36a6, v14
	;; [unrolled: 1-line block ×3, first 2 shown]
	v_add_f16_e32 v82, v19, v82
	v_mul_f16_e32 v14, 0x3abb, v14
	v_mul_f16_e32 v81, 0xb08e, v66
	;; [unrolled: 1-line block ×4, first 2 shown]
	v_add_f16_e32 v82, v91, v82
	v_fmamk_f16 v91, v74, 0x3abb, v92
	v_fmamk_f16 v116, v65, 0x3853, v14
	v_mul_f16_e32 v66, 0x36a6, v66
	v_mul_f16_e32 v86, 0x3abb, v71
	;; [unrolled: 1-line block ×3, first 2 shown]
	v_add_f16_e32 v82, v91, v82
	v_fmamk_f16 v91, v78, 0xbbad, v94
	v_mul_f16_e32 v110, 0xbbad, v71
	v_mul_f16_e32 v71, 0xb08e, v71
	v_add_f16_e32 v48, v19, v48
	v_mul_f16_e32 v88, 0xbbad, v61
	v_add_f16_e32 v82, v91, v82
	v_fmamk_f16 v91, v83, 0x36a6, v96
	v_mul_f16_e32 v100, 0x3abb, v61
	v_mul_f16_e32 v112, 0xb08e, v61
	;; [unrolled: 1-line block ×3, first 2 shown]
	v_add_f16_e32 v45, v45, v40
	v_add_f16_e32 v82, v91, v82
	v_fmamk_f16 v91, v55, 0xb08e, v99
	v_add_f16_e32 v44, v44, v48
	v_fmamk_f16 v48, v16, 0x3a0c, v61
	v_add_f16_e32 v45, v47, v45
	v_fmamk_f16 v80, v65, 0x3a0c, v76
	v_add_f16_e32 v91, v19, v91
	v_add_f16_e32 v43, v43, v44
	v_fmamk_f16 v85, v4, 0xbbeb, v81
	v_add_f16_e32 v23, v23, v45
	v_add_f16_e32 v80, v40, v80
	;; [unrolled: 1-line block ×3, first 2 shown]
	v_fmamk_f16 v103, v74, 0x36a6, v104
	v_add_f16_e32 v17, v17, v43
	v_mul_f16_e32 v43, 0xbbad, v68
	v_add_f16_e32 v6, v6, v23
	v_mul_f16_e32 v23, 0xbbeb, v70
	v_add_f16_e32 v91, v103, v91
	v_fmamk_f16 v103, v78, 0x3abb, v106
	v_add_f16_e32 v17, v41, v17
	v_fmamk_f16 v41, v72, 0x3482, v43
	v_add_f16_e32 v6, v64, v6
	v_add_f16_e32 v80, v85, v80
	;; [unrolled: 1-line block ×3, first 2 shown]
	v_mul_f16_e32 v103, 0xbb47, v21
	v_mul_f16_e32 v21, 0xb853, v21
	v_add_f16_e32 v17, v54, v17
	v_mul_f16_e32 v54, 0xba0c, v73
	v_add_f16_e32 v91, v111, v91
	v_fmamk_f16 v113, v55, 0x36a6, v103
	v_fmamk_f16 v47, v55, 0x3abb, v21
	v_add_f16_e32 v5, v5, v6
	v_add_f16_e32 v6, v24, v17
	v_fmamk_f16 v24, v78, 0xb93d, v54
	v_add_f16_e32 v111, v19, v113
	v_fmamk_f16 v113, v1, 0xb93d, v114
	;; [unrolled: 2-line block ×3, first 2 shown]
	v_add_f16_e32 v3, v3, v5
	v_add_f16_e32 v5, v63, v6
	;; [unrolled: 1-line block ×3, first 2 shown]
	v_fmamk_f16 v113, v74, 0xbbad, v115
	v_fmac_f16_e32 v51, 0xb482, v65
	v_add_f16_e32 v80, v85, v80
	v_fmamk_f16 v85, v16, 0x3482, v88
	v_mul_f16_e32 v90, 0x36a6, v68
	v_add_f16_e32 v111, v113, v111
	v_add_f16_e32 v113, v40, v116
	v_fmamk_f16 v116, v4, 0x3b47, v66
	v_add_f16_e32 v3, v18, v3
	v_add_f16_e32 v18, v40, v51
	v_fmac_f16_e32 v13, 0x3853, v4
	v_add_f16_e32 v80, v85, v80
	v_add_f16_e32 v113, v116, v113
	v_fmamk_f16 v116, v60, 0x3beb, v71
	v_fmamk_f16 v85, v72, 0xbb47, v90
	v_add_f16_e32 v13, v13, v18
	v_fmac_f16_e32 v42, 0xba0c, v60
	v_fmac_f16_e32 v76, 0xba0c, v65
	v_add_f16_e32 v113, v116, v113
	v_fma_f16 v15, v1, 0x3abb, -v15
	v_add_f16_e32 v80, v85, v80
	v_fmamk_f16 v85, v65, 0x3beb, v93
	v_add_f16_e32 v13, v42, v13
	v_add_f16_e32 v44, v48, v113
	v_mul_f16_e32 v48, 0xbb47, v69
	v_fmac_f16_e32 v7, 0x3b47, v16
	v_add_f16_e32 v18, v40, v76
	v_fmac_f16_e32 v81, 0x3beb, v4
	v_add_f16_e32 v41, v41, v44
	v_fmamk_f16 v47, v1, 0x36a6, v48
	v_mul_f16_e32 v44, 0xb482, v77
	v_add_f16_e32 v85, v40, v85
	v_fmamk_f16 v97, v4, 0xb482, v95
	v_add_f16_e32 v7, v7, v13
	v_add_f16_e32 v45, v47, v45
	v_fmamk_f16 v47, v74, 0xb08e, v23
	v_add_f16_e32 v13, v81, v18
	v_fma_f16 v18, v55, 0xb93d, -v87
	v_add_f16_e32 v85, v97, v85
	v_fmamk_f16 v97, v60, 0xbb47, v98
	v_add_f16_e32 v17, v47, v45
	v_add_f16_e32 v3, v20, v3
	;; [unrolled: 1-line block ×3, first 2 shown]
	v_fma_f16 v20, v1, 0xb08e, -v89
	v_add_f16_e32 v85, v97, v85
	v_add_f16_e32 v6, v24, v17
	v_fmamk_f16 v17, v83, 0xbbad, v44
	v_fmamk_f16 v97, v16, 0x3853, v100
	v_mul_f16_e32 v102, 0xb93d, v68
	v_fma_f16 v24, v1, 0xbbad, -v101
	v_fmamk_f16 v109, v4, 0x3a0c, v107
	v_add_f16_e32 v6, v17, v6
	v_fma_f16 v17, v55, 0xbbad, -v67
	v_add_f16_e32 v85, v97, v85
	v_fmamk_f16 v97, v72, 0x3a0c, v102
	v_fma_f16 v42, v83, 0xb93d, -v108
	v_fma_f16 v45, v1, 0xb93d, -v114
	v_add_f16_e32 v17, v19, v17
	v_fmac_f16_e32 v22, 0xbbeb, v72
	v_add_f16_e32 v85, v97, v85
	v_fmamk_f16 v97, v65, 0x3b47, v105
	v_fmac_f16_e32 v93, 0xbbeb, v65
	v_add_f16_e32 v15, v15, v17
	v_fma_f16 v17, v74, 0xb93d, -v75
	v_fmac_f16_e32 v105, 0xbb47, v65
	v_add_f16_e32 v97, v40, v97
	v_fmac_f16_e32 v14, 0xb853, v65
	v_fma_f16 v21, v55, 0x3abb, -v21
	v_add_f16_e32 v15, v17, v15
	v_fma_f16 v17, v78, 0x36a6, -v79
	v_add_f16_e32 v97, v109, v97
	v_fmamk_f16 v109, v60, 0xb482, v110
	v_mul_f16_e32 v118, 0x3beb, v73
	v_add_f16_e32 v7, v22, v7
	v_add_f16_e32 v15, v17, v15
	v_fma_f16 v17, v83, 0xb08e, -v84
	v_add_f16_e32 v97, v109, v97
	v_fmamk_f16 v109, v16, 0xbbeb, v112
	v_add_f16_e32 v22, v40, v93
	v_fmac_f16_e32 v95, 0x3482, v4
	v_add_f16_e32 v15, v17, v15
	v_add_f16_e32 v17, v20, v18
	v_fma_f16 v18, v74, 0x3abb, -v92
	v_fma_f16 v20, v55, 0xb08e, -v99
	v_add_f16_e32 v97, v109, v97
	v_mul_f16_e32 v109, 0x3abb, v68
	v_fmac_f16_e32 v107, 0xba0c, v4
	v_add_f16_e32 v17, v18, v17
	v_fma_f16 v18, v78, 0xbbad, -v94
	v_add_f16_e32 v20, v19, v20
	v_add_f16_e32 v14, v40, v14
	v_fmac_f16_e32 v66, 0xbb47, v4
	v_fma_f16 v1, v1, 0x36a6, -v48
	v_add_f16_e32 v17, v18, v17
	v_fma_f16 v18, v83, 0x36a6, -v96
	v_add_f16_e32 v20, v24, v20
	v_fma_f16 v24, v74, 0x36a6, -v104
	v_fmamk_f16 v117, v72, 0xb853, v109
	v_fmac_f16_e32 v86, 0xb853, v60
	v_add_f16_e32 v17, v18, v17
	v_add_f16_e32 v22, v95, v22
	;; [unrolled: 1-line block ×3, first 2 shown]
	v_fma_f16 v20, v78, 0x3abb, -v106
	v_add_f16_e32 v24, v40, v105
	v_fmac_f16_e32 v98, 0x3b47, v60
	v_fmac_f16_e32 v110, 0x3482, v60
	v_add_f16_e32 v14, v66, v14
	v_add_f16_e32 v18, v20, v18
	v_fma_f16 v20, v55, 0x36a6, -v103
	v_add_f16_e32 v24, v107, v24
	v_fmac_f16_e32 v71, 0xbbeb, v60
	v_fmamk_f16 v119, v78, 0xb08e, v118
	v_add_f16_e32 v18, v42, v18
	v_add_f16_e32 v20, v19, v20
	v_fma_f16 v42, v74, 0xbbad, -v115
	v_add_f16_e32 v19, v19, v21
	v_add_f16_e32 v97, v117, v97
	v_mul_f16_e32 v117, 0x3853, v77
	v_add_f16_e32 v20, v45, v20
	v_add_f16_e32 v5, v50, v5
	;; [unrolled: 1-line block ×3, first 2 shown]
	v_fma_f16 v19, v74, 0xb08e, -v23
	v_add_f16_e32 v13, v86, v13
	v_add_f16_e32 v4, v42, v20
	v_fma_f16 v20, v78, 0xb08e, -v118
	v_fmac_f16_e32 v88, 0xb482, v16
	v_add_f16_e32 v22, v98, v22
	v_fmac_f16_e32 v100, 0xb853, v16
	v_add_f16_e32 v24, v110, v24
	v_add_f16_e32 v4, v20, v4
	v_mul_u32_u24_e32 v20, 0xb0, v52
	v_fmac_f16_e32 v112, 0x3beb, v16
	v_add_f16_e32 v14, v71, v14
	v_fmac_f16_e32 v61, 0xba0c, v16
	v_add_f16_e32 v1, v19, v1
	v_fma_f16 v16, v78, 0xb93d, -v54
	v_add_f16_e32 v111, v119, v111
	v_fmamk_f16 v119, v83, 0x3abb, v117
	v_add_f16_e32 v5, v49, v5
	v_add_f16_e32 v3, v46, v3
	v_or_b32_e32 v20, v20, v39
	v_add_f16_e32 v13, v88, v13
	v_fmac_f16_e32 v90, 0x3b47, v72
	v_add_f16_e32 v22, v100, v22
	v_fmac_f16_e32 v102, 0xba0c, v72
	;; [unrolled: 2-line block ×3, first 2 shown]
	v_fma_f16 v19, v83, 0x3abb, -v117
	v_add_f16_e32 v14, v61, v14
	v_fmac_f16_e32 v43, 0xb482, v72
	v_add_f16_e32 v1, v16, v1
	v_fma_f16 v16, v83, 0xbbad, -v44
	v_add_f16_e32 v111, v119, v111
	v_lshlrev_b32_e32 v20, 2, v20
	v_pack_b32_f16 v3, v5, v3
	v_pack_b32_f16 v5, v6, v41
	v_add_f16_e32 v13, v90, v13
	v_add_f16_e32 v22, v102, v22
	;; [unrolled: 1-line block ×6, first 2 shown]
	ds_store_2addr_b32 v20, v3, v5 offset1:16
	v_pack_b32_f16 v3, v111, v97
	v_pack_b32_f16 v5, v91, v85
	;; [unrolled: 1-line block ×9, first 2 shown]
	ds_store_2addr_b32 v20, v3, v5 offset0:32 offset1:48
	ds_store_2addr_b32 v20, v16, v0 offset0:64 offset1:80
	;; [unrolled: 1-line block ×4, first 2 shown]
	ds_store_b32 v20, v1 offset:640
.LBB0_9:
	s_or_b32 exec_lo, exec_lo, s0
	s_waitcnt lgkmcnt(0)
	s_barrier
	buffer_gl0_inv
	v_add_nc_u32_e32 v6, 0x500, v38
	ds_load_2addr_b32 v[0:1], v38 offset1:176
	v_add_nc_u32_e32 v21, 0xa00, v38
	ds_load_2addr_b32 v[2:3], v6 offset0:32 offset1:208
	ds_load_2addr_b32 v[4:5], v21 offset0:64 offset1:240
	s_mov_b32 s8, 0xf07c1f08
	s_mov_b32 s9, 0x3f4f07c1
	s_waitcnt lgkmcnt(2)
	v_lshrrev_b32_e32 v13, 16, v1
	v_mul_f16_e32 v14, v62, v1
	v_lshrrev_b32_e32 v7, 16, v0
	s_waitcnt lgkmcnt(1)
	v_lshrrev_b32_e32 v15, 16, v2
	v_lshrrev_b32_e32 v16, 16, v3
	s_waitcnt lgkmcnt(0)
	v_lshrrev_b32_e32 v17, 16, v4
	v_mul_f16_e32 v19, v62, v13
	v_fma_f16 v13, v8, v13, -v14
	v_mul_f16_e32 v14, v59, v2
	v_mul_f16_e32 v20, v58, v3
	v_lshrrev_b32_e32 v18, 16, v5
	v_fmac_f16_e32 v19, v8, v1
	v_mul_f16_e32 v1, v59, v15
	v_fma_f16 v8, v9, v15, -v14
	v_mul_f16_e32 v14, v58, v16
	v_fma_f16 v15, v10, v16, -v20
	v_mul_f16_e32 v16, v57, v17
	v_mul_f16_e32 v22, v57, v4
	;; [unrolled: 1-line block ×3, first 2 shown]
	v_fmac_f16_e32 v1, v9, v2
	v_mul_f16_e32 v20, v56, v18
	v_fmac_f16_e32 v16, v11, v4
	v_fma_f16 v17, v11, v17, -v22
	v_fma_f16 v18, v53, v18, -v23
	v_fmac_f16_e32 v14, v10, v3
	v_fmac_f16_e32 v20, v53, v5
	v_add_f16_e32 v9, v1, v16
	v_sub_f16_e32 v2, v8, v17
	v_add_f16_e32 v3, v7, v8
	v_add_f16_e32 v4, v8, v17
	v_add_f16_e32 v8, v15, v18
	v_add_f16_e32 v10, v0, v1
	v_fmac_f16_e32 v0, -0.5, v9
	v_add_f16_e32 v5, v13, v15
	v_fmac_f16_e32 v7, -0.5, v4
	v_sub_f16_e32 v1, v1, v16
	v_add_f16_e32 v4, v14, v20
	v_fmac_f16_e32 v13, -0.5, v8
	v_add_f16_e32 v8, v10, v16
	v_fmamk_f16 v10, v2, 0xbaee, v0
	v_fmac_f16_e32 v0, 0x3aee, v2
	v_sub_f16_e32 v2, v14, v20
	v_fmamk_f16 v9, v1, 0x3aee, v7
	v_add_f16_e32 v11, v19, v14
	v_fmac_f16_e32 v19, -0.5, v4
	v_sub_f16_e32 v4, v15, v18
	v_fmac_f16_e32 v7, 0xbaee, v1
	v_fmamk_f16 v1, v2, 0x3aee, v13
	v_fmac_f16_e32 v13, 0xbaee, v2
	v_add_f16_e32 v2, v11, v20
	v_fmamk_f16 v11, v4, 0xbaee, v19
	v_fmac_f16_e32 v19, 0x3aee, v4
	v_mul_f16_e32 v4, 0xbaee, v1
	v_mul_f16_e32 v1, 0.5, v1
	v_mul_f16_e32 v14, 0xbaee, v13
	v_mul_f16_e32 v13, -0.5, v13
	v_add_f16_e32 v3, v3, v17
	v_add_f16_e32 v5, v5, v18
	v_fmac_f16_e32 v4, 0.5, v11
	v_fmac_f16_e32 v1, 0x3aee, v11
	v_fmac_f16_e32 v14, -0.5, v19
	v_fmac_f16_e32 v13, 0x3aee, v19
	v_add_f16_e32 v15, v8, v2
	v_add_f16_e32 v11, v10, v4
	;; [unrolled: 1-line block ×6, first 2 shown]
	v_sub_f16_e32 v2, v8, v2
	v_sub_f16_e32 v3, v3, v5
	;; [unrolled: 1-line block ×6, first 2 shown]
	v_pack_b32_f16 v7, v15, v17
	v_pack_b32_f16 v8, v11, v18
	;; [unrolled: 1-line block ×6, first 2 shown]
	ds_store_2addr_b32 v38, v7, v8 offset1:176
	ds_store_2addr_b32 v6, v9, v2 offset0:32 offset1:208
	ds_store_2addr_b32 v21, v1, v0 offset0:64 offset1:240
	s_waitcnt lgkmcnt(0)
	s_barrier
	buffer_gl0_inv
	ds_load_2addr_b32 v[2:3], v38 offset1:176
	ds_load_2addr_b32 v[0:1], v6 offset0:32 offset1:208
	s_waitcnt lgkmcnt(1)
	v_lshrrev_b32_e32 v4, 16, v2
	s_waitcnt lgkmcnt(0)
	v_lshrrev_b32_e32 v6, 16, v1
	v_mul_f16_e32 v7, v36, v1
	v_mul_f16_e32 v5, v37, v2
	v_lshrrev_b32_e32 v10, 16, v3
	v_mul_f16_e32 v8, v37, v4
	v_mul_f16_e32 v9, v36, v6
	v_fma_f16 v7, v34, v6, -v7
	v_fma_f16 v5, v35, v4, -v5
	v_mul_f16_e32 v11, v33, v3
	v_fmac_f16_e32 v8, v35, v2
	v_fmac_f16_e32 v9, v34, v1
	v_cvt_f32_f16_e32 v2, v7
	v_cvt_f32_f16_e32 v4, v5
	v_mul_f16_e32 v13, v33, v10
	v_cvt_f32_f16_e32 v8, v8
	v_fma_f16 v14, v32, v10, -v11
	v_cvt_f64_f32_e32 v[6:7], v2
	v_cvt_f64_f32_e32 v[4:5], v4
	v_fmac_f16_e32 v13, v32, v3
	v_cvt_f64_f32_e32 v[1:2], v8
	v_cvt_f32_f16_e32 v8, v9
	v_cvt_f32_f16_e32 v3, v14
	v_mad_u64_u32 v[10:11], null, s6, v12, 0
	v_cvt_f32_f16_e32 v17, v13
	s_delay_alu instid0(VALU_DEP_4) | instskip(NEXT) | instid1(VALU_DEP_4)
	v_cvt_f64_f32_e32 v[8:9], v8
	v_cvt_f64_f32_e32 v[15:16], v3
	v_mad_u64_u32 v[13:14], null, s4, v31, 0
	s_delay_alu instid0(VALU_DEP_4)
	v_cvt_f64_f32_e32 v[17:18], v17
	v_mul_f64 v[6:7], v[6:7], s[8:9]
	v_mul_f64 v[3:4], v[4:5], s[8:9]
	v_mov_b32_e32 v5, v11
	v_mul_f64 v[1:2], v[1:2], s[8:9]
	v_mov_b32_e32 v11, v14
	v_mul_f64 v[8:9], v[8:9], s[8:9]
	s_delay_alu instid0(VALU_DEP_2) | instskip(NEXT) | instid1(VALU_DEP_1)
	v_mad_u64_u32 v[22:23], null, s5, v31, v[11:12]
	v_mov_b32_e32 v14, v22
	v_mad_u64_u32 v[19:20], null, s7, v12, v[5:6]
	s_delay_alu instid0(VALU_DEP_2)
	v_lshlrev_b64 v[12:13], 2, v[13:14]
	v_bfe_u32 v24, v2, 20, 11
	v_and_or_b32 v3, 0x1ff, v4, v3
	v_and_or_b32 v6, 0x1ff, v7, v6
	;; [unrolled: 1-line block ×3, first 2 shown]
	v_lshrrev_b32_e32 v23, 8, v2
	v_mov_b32_e32 v11, v19
	v_sub_nc_u32_e32 v35, 0x3f1, v24
	v_add_nc_u32_e32 v24, 0xfffffc10, v24
	v_and_or_b32 v8, 0x1ff, v9, v8
	v_bfe_u32 v22, v7, 20, 11
	v_lshlrev_b64 v[10:11], 2, v[10:11]
	v_lshrrev_b32_e32 v32, 8, v9
	v_bfe_u32 v33, v9, 20, 11
	ds_load_2addr_b32 v[20:21], v21 offset0:64 offset1:240
	v_sub_nc_u32_e32 v34, 0x3f1, v22
	v_add_nc_u32_e32 v22, 0xfffffc10, v22
	v_add_co_u32 v5, vcc_lo, s2, v10
	v_add_co_ci_u32_e32 v11, vcc_lo, s3, v11, vcc_lo
	v_lshrrev_b32_e32 v2, 16, v2
	s_delay_alu instid0(VALU_DEP_3) | instskip(NEXT) | instid1(VALU_DEP_3)
	v_add_co_u32 v10, vcc_lo, v5, v12
	v_add_co_ci_u32_e32 v11, vcc_lo, v11, v13, vcc_lo
	v_cmp_ne_u32_e32 vcc_lo, 0, v3
	v_mul_f64 v[12:13], v[15:16], s[8:9]
	v_mul_f64 v[14:15], v[17:18], s[8:9]
	v_lshrrev_b32_e32 v16, 8, v4
	v_bfe_u32 v17, v4, 20, 11
	v_cndmask_b32_e64 v3, 0, 1, vcc_lo
	v_cmp_ne_u32_e32 vcc_lo, 0, v6
	v_lshrrev_b32_e32 v18, 8, v7
	v_lshrrev_b32_e32 v4, 16, v4
	v_sub_nc_u32_e32 v31, 0x3f1, v17
	v_and_or_b32 v3, 0xffe, v16, v3
	v_cndmask_b32_e64 v6, 0, 1, vcc_lo
	v_cmp_ne_u32_e32 vcc_lo, 0, v1
	v_add_nc_u32_e32 v17, 0xfffffc10, v17
	v_med3_i32 v16, v31, 0, 13
	v_sub_nc_u32_e32 v31, 0x3f1, v33
	v_and_or_b32 v6, 0xffe, v18, v6
	v_cndmask_b32_e64 v1, 0, 1, vcc_lo
	v_cmp_ne_u32_e32 vcc_lo, 0, v8
	v_med3_i32 v18, v34, 0, 13
	v_or_b32_e32 v34, 0x1000, v3
	v_med3_i32 v31, v31, 0, 13
	v_and_or_b32 v1, 0xffe, v23, v1
	v_cndmask_b32_e64 v8, 0, 1, vcc_lo
	v_med3_i32 v23, v35, 0, 13
	v_cmp_ne_u32_e32 vcc_lo, 0, v3
	v_lshl_or_b32 v35, v17, 12, v3
	v_or_b32_e32 v36, 0x1000, v1
	v_and_or_b32 v8, 0xffe, v32, v8
	v_lshrrev_b32_e32 v37, v16, v34
	v_cndmask_b32_e64 v3, 0, 1, vcc_lo
	v_cmp_ne_u32_e32 vcc_lo, 0, v1
	v_lshrrev_b32_e32 v32, v23, v36
	v_lshl_or_b32 v40, v24, 12, v1
	v_lshlrev_b32_e32 v16, v16, v37
	v_or_b32_e32 v41, 0x1000, v8
	v_cndmask_b32_e64 v1, 0, 1, vcc_lo
	v_lshlrev_b32_e32 v23, v23, v32
	v_or_b32_e32 v38, 0x1000, v6
	v_lshl_or_b32 v39, v22, 12, v6
	v_add_nc_u32_e32 v33, 0xfffffc10, v33
	v_lshl_or_b32 v1, v1, 9, 0x7c00
	v_cmp_ne_u32_e32 vcc_lo, v23, v36
	v_lshrrev_b32_e32 v36, v18, v38
	v_lshl_or_b32 v3, v3, 9, 0x7c00
	s_waitcnt lgkmcnt(0)
	v_lshrrev_b32_e32 v19, 16, v20
	v_and_or_b32 v12, 0x1ff, v13, v12
	v_cndmask_b32_e64 v23, 0, 1, vcc_lo
	v_cmp_ne_u32_e32 vcc_lo, v16, v34
	v_lshrrev_b32_e32 v34, v31, v41
	v_lshlrev_b32_e32 v18, v18, v36
	v_mul_f16_e32 v5, v30, v19
	v_or_b32_e32 v23, v32, v23
	v_cndmask_b32_e64 v16, 0, 1, vcc_lo
	v_cmp_gt_i32_e32 vcc_lo, 1, v24
	v_lshlrev_b32_e32 v31, v31, v34
	v_lshl_or_b32 v32, v33, 12, v8
	v_fmac_f16_e32 v5, v29, v20
	v_or_b32_e32 v16, v37, v16
	v_cndmask_b32_e32 v23, v40, v23, vcc_lo
	v_cmp_gt_i32_e32 vcc_lo, 1, v17
	s_mul_i32 s3, s4, 0x840
	s_delay_alu instid0(VALU_DEP_3) | instskip(SKIP_3) | instid1(VALU_DEP_4)
	v_cndmask_b32_e32 v16, v35, v16, vcc_lo
	v_cmp_ne_u32_e32 vcc_lo, v31, v41
	v_and_b32_e32 v35, 7, v23
	v_lshrrev_b32_e32 v23, 2, v23
	v_and_b32_e32 v37, 7, v16
	v_cndmask_b32_e64 v31, 0, 1, vcc_lo
	s_delay_alu instid0(VALU_DEP_4)
	v_cmp_lt_i32_e32 vcc_lo, 5, v35
	v_cmp_eq_u32_e64 s0, 3, v35
	v_lshrrev_b32_e32 v16, 2, v16
	v_cmp_lt_i32_e64 s1, 5, v37
	v_cmp_eq_u32_e64 s2, 3, v37
	v_or_b32_e32 v31, v34, v31
	s_or_b32 vcc_lo, s0, vcc_lo
	v_add_co_ci_u32_e32 v23, vcc_lo, 0, v23, vcc_lo
	s_delay_alu instid0(VALU_DEP_3)
	s_or_b32 vcc_lo, s2, s1
	v_cmp_ne_u32_e64 s1, 0, v8
	v_add_co_ci_u32_e32 v16, vcc_lo, 0, v16, vcc_lo
	v_cmp_gt_i32_e32 vcc_lo, 31, v24
	s_mul_hi_u32 s2, s4, 0x840
	v_cndmask_b32_e32 v23, 0x7c00, v23, vcc_lo
	v_cmp_gt_i32_e32 vcc_lo, 1, v33
	v_cndmask_b32_e32 v31, v32, v31, vcc_lo
	v_cmp_gt_i32_e32 vcc_lo, 31, v17
	s_delay_alu instid0(VALU_DEP_2)
	v_lshrrev_b32_e32 v8, 2, v31
	v_cndmask_b32_e32 v16, 0x7c00, v16, vcc_lo
	v_cmp_eq_u32_e32 vcc_lo, 0x40f, v24
	v_cndmask_b32_e32 v1, v23, v1, vcc_lo
	v_cmp_eq_u32_e32 vcc_lo, 0x40f, v17
	v_and_b32_e32 v23, 7, v31
	v_lshrrev_b32_e32 v17, 8, v13
	s_delay_alu instid0(VALU_DEP_4)
	v_and_or_b32 v1, 0x8000, v2, v1
	v_cndmask_b32_e32 v3, v16, v3, vcc_lo
	v_cmp_ne_u32_e32 vcc_lo, v18, v38
	v_cmp_eq_u32_e64 s0, 3, v23
	v_bfe_u32 v16, v15, 20, 11
	v_and_b32_e32 v1, 0xffff, v1
	v_and_or_b32 v3, 0x8000, v4, v3
	v_cndmask_b32_e64 v2, 0, 1, vcc_lo
	v_cmp_lt_i32_e32 vcc_lo, 5, v23
	v_cndmask_b32_e64 v4, 0, 1, s1
	v_bfe_u32 v18, v13, 20, 11
	v_lshl_or_b32 v1, v3, 16, v1
	v_or_b32_e32 v2, v36, v2
	s_or_b32 vcc_lo, s0, vcc_lo
	v_lshrrev_b32_e32 v13, 16, v13
	v_add_co_ci_u32_e32 v3, vcc_lo, 0, v8, vcc_lo
	v_cmp_gt_i32_e32 vcc_lo, 1, v22
	global_store_b32 v[10:11], v1, off
	v_cndmask_b32_e32 v8, v39, v2, vcc_lo
	v_cmp_gt_i32_e32 vcc_lo, 31, v33
	v_lshl_or_b32 v2, v4, 9, 0x7c00
	v_cvt_f32_f16_e32 v4, v5
	v_and_or_b32 v5, 0x1ff, v15, v14
	v_cndmask_b32_e32 v1, 0x7c00, v3, vcc_lo
	v_and_b32_e32 v3, 7, v8
	v_cmp_eq_u32_e32 vcc_lo, 0x40f, v33
	s_delay_alu instid0(VALU_DEP_4)
	v_cmp_ne_u32_e64 s0, 0, v5
	v_lshrrev_b32_e32 v5, 8, v15
	v_lshrrev_b32_e32 v8, 2, v8
	;; [unrolled: 1-line block ×3, first 2 shown]
	v_cndmask_b32_e32 v14, v1, v2, vcc_lo
	v_cmp_lt_i32_e32 vcc_lo, 5, v3
	v_cvt_f64_f32_e32 v[1:2], v4
	v_cndmask_b32_e64 v4, 0, 1, s0
	v_cmp_eq_u32_e64 s0, 3, v3
	v_lshrrev_b32_e32 v3, 16, v9
	s_delay_alu instid0(VALU_DEP_3) | instskip(NEXT) | instid1(VALU_DEP_3)
	v_and_or_b32 v9, 0xffe, v5, v4
	s_or_b32 vcc_lo, s0, vcc_lo
	v_sub_nc_u32_e32 v4, 0x3f1, v16
	v_add_co_ci_u32_e32 v5, vcc_lo, 0, v8, vcc_lo
	v_cmp_ne_u32_e32 vcc_lo, 0, v6
	v_or_b32_e32 v8, 0x1000, v9
	s_delay_alu instid0(VALU_DEP_4)
	v_med3_i32 v4, v4, 0, 13
	v_and_or_b32 v14, 0x8000, v3, v14
	s_mul_i32 s0, s5, 0x840
	v_cndmask_b32_e64 v6, 0, 1, vcc_lo
	v_cmp_gt_i32_e32 vcc_lo, 31, v22
	v_lshrrev_b32_e32 v3, v4, v8
	v_and_b32_e32 v14, 0xffff, v14
	s_add_i32 s2, s2, s0
	v_lshl_or_b32 v6, v6, 9, 0x7c00
	v_cndmask_b32_e32 v5, 0x7c00, v5, vcc_lo
	v_cmp_eq_u32_e32 vcc_lo, 0x40f, v22
	s_delay_alu instid0(VALU_DEP_2)
	v_dual_cndmask_b32 v5, v5, v6 :: v_dual_lshlrev_b32 v4, v4, v3
	v_cmp_ne_u32_e32 vcc_lo, 0, v12
	v_mul_f16_e32 v12, v30, v20
	v_lshrrev_b32_e32 v6, 16, v7
	v_cndmask_b32_e64 v7, 0, 1, vcc_lo
	v_cmp_ne_u32_e32 vcc_lo, v4, v8
	s_delay_alu instid0(VALU_DEP_4)
	v_fma_f16 v8, v29, v19, -v12
	v_add_nc_u32_e32 v12, 0xfffffc10, v16
	v_sub_nc_u32_e32 v16, 0x3f1, v18
	v_and_or_b32 v7, 0xffe, v17, v7
	v_cndmask_b32_e64 v4, 0, 1, vcc_lo
	v_cvt_f32_f16_e32 v8, v8
	v_mul_f64 v[1:2], v[1:2], s[8:9]
	v_med3_i32 v16, v16, 0, 13
	v_or_b32_e32 v20, 0x1000, v7
	v_or_b32_e32 v17, v3, v4
	v_cvt_f64_f32_e32 v[3:4], v8
	v_lshl_or_b32 v19, v12, 12, v9
	v_cmp_gt_i32_e32 vcc_lo, 1, v12
	v_lshrrev_b32_e32 v8, v16, v20
	v_and_or_b32 v5, 0x8000, v6, v5
	s_delay_alu instid0(VALU_DEP_4) | instskip(NEXT) | instid1(VALU_DEP_3)
	v_cndmask_b32_e32 v6, v19, v17, vcc_lo
	v_lshlrev_b32_e32 v16, v16, v8
	s_delay_alu instid0(VALU_DEP_3) | instskip(SKIP_1) | instid1(VALU_DEP_4)
	v_lshl_or_b32 v19, v5, 16, v14
	v_lshrrev_b32_e32 v14, 16, v0
	v_and_b32_e32 v17, 7, v6
	s_delay_alu instid0(VALU_DEP_4)
	v_cmp_ne_u32_e64 s0, v16, v20
	v_lshrrev_b32_e32 v6, 2, v6
	v_add_nc_u32_e32 v16, 0xfffffc10, v18
	v_mul_f16_e32 v18, v28, v14
	v_cmp_lt_i32_e32 vcc_lo, 5, v17
	v_cndmask_b32_e64 v5, 0, 1, s0
	v_cmp_eq_u32_e64 s0, 3, v17
	s_delay_alu instid0(VALU_DEP_4) | instskip(SKIP_1) | instid1(VALU_DEP_4)
	v_fmac_f16_e32 v18, v27, v0
	v_mul_f16_e32 v0, v28, v0
	v_or_b32_e32 v5, v8, v5
	s_delay_alu instid0(VALU_DEP_4) | instskip(SKIP_4) | instid1(VALU_DEP_4)
	s_or_b32 vcc_lo, s0, vcc_lo
	v_lshl_or_b32 v8, v16, 12, v7
	v_add_co_ci_u32_e32 v6, vcc_lo, 0, v6, vcc_lo
	v_cmp_gt_i32_e32 vcc_lo, 1, v16
	v_fma_f16 v0, v27, v14, -v0
	v_cndmask_b32_e32 v8, v8, v5, vcc_lo
	v_cvt_f32_f16_e32 v5, v18
	v_cmp_gt_i32_e32 vcc_lo, 31, v12
	v_and_or_b32 v1, 0x1ff, v2, v1
	v_lshrrev_b32_e32 v20, 8, v2
	v_mul_f64 v[3:4], v[3:4], s[8:9]
	v_dual_cndmask_b32 v17, 0x7c00, v6 :: v_dual_and_b32 v18, 7, v8
	v_cvt_f64_f32_e32 v[5:6], v5
	v_cmp_ne_u32_e32 vcc_lo, 0, v9
	v_cmp_ne_u32_e64 s0, 0, v1
	v_lshrrev_b32_e32 v8, 2, v8
	v_bfe_u32 v22, v2, 20, 11
	v_cvt_f32_f16_e32 v0, v0
	v_cndmask_b32_e64 v9, 0, 1, vcc_lo
	v_cmp_lt_i32_e32 vcc_lo, 5, v18
	v_cndmask_b32_e64 v1, 0, 1, s0
	v_cmp_eq_u32_e64 s0, 3, v18
	v_lshrrev_b32_e32 v2, 16, v2
	v_lshl_or_b32 v9, v9, 9, 0x7c00
	s_delay_alu instid0(VALU_DEP_4) | instskip(NEXT) | instid1(VALU_DEP_4)
	v_and_or_b32 v18, 0xffe, v20, v1
	s_or_b32 vcc_lo, s0, vcc_lo
	v_sub_nc_u32_e32 v1, 0x3f1, v22
	v_add_co_ci_u32_e32 v8, vcc_lo, 0, v8, vcc_lo
	v_cmp_ne_u32_e32 vcc_lo, 0, v7
	v_or_b32_e32 v20, 0x1000, v18
	s_delay_alu instid0(VALU_DEP_4) | instskip(SKIP_4) | instid1(VALU_DEP_2)
	v_med3_i32 v1, v1, 0, 13
	s_mul_i32 s0, s5, 0xfffffa80
	v_cndmask_b32_e64 v7, 0, 1, vcc_lo
	v_cmp_gt_i32_e32 vcc_lo, 31, v16
	s_sub_i32 s5, s0, s4
	v_lshl_or_b32 v7, v7, 9, 0x7c00
	v_cndmask_b32_e32 v8, 0x7c00, v8, vcc_lo
	v_cmp_eq_u32_e32 vcc_lo, 0x40f, v12
	v_lshrrev_b32_e32 v12, v1, v20
	v_cndmask_b32_e32 v9, v17, v9, vcc_lo
	v_cmp_eq_u32_e32 vcc_lo, 0x40f, v16
	s_delay_alu instid0(VALU_DEP_3)
	v_lshlrev_b32_e32 v1, v1, v12
	v_mul_f64 v[5:6], v[5:6], s[8:9]
	v_and_or_b32 v3, 0x1ff, v4, v3
	v_bfe_u32 v14, v4, 20, 11
	v_cndmask_b32_e32 v16, v8, v7, vcc_lo
	v_add_co_u32 v7, vcc_lo, v10, s3
	v_add_co_ci_u32_e32 v8, vcc_lo, s2, v11, vcc_lo
	v_cmp_ne_u32_e32 vcc_lo, v1, v20
	v_and_or_b32 v11, 0x8000, v15, v9
	v_and_or_b32 v15, 0x8000, v13, v16
	v_add_nc_u32_e32 v16, 0xfffffc10, v22
	v_lshrrev_b32_e32 v13, 8, v4
	v_cndmask_b32_e64 v1, 0, 1, vcc_lo
	v_cmp_ne_u32_e32 vcc_lo, 0, v3
	v_lshrrev_b32_e32 v22, 16, v21
	v_and_b32_e32 v23, 0xffff, v11
	v_cmp_eq_u32_e64 s1, 0x40f, v16
	v_or_b32_e32 v1, v12, v1
	v_cndmask_b32_e64 v3, 0, 1, vcc_lo
	v_lshl_or_b32 v12, v16, 12, v18
	v_cmp_gt_i32_e32 vcc_lo, 1, v16
	v_mul_f16_e32 v11, v26, v22
	v_mad_u64_u32 v[9:10], null, 0xfffffa80, s4, v[7:8]
	v_and_or_b32 v3, 0xffe, v13, v3
	v_sub_nc_u32_e32 v13, 0x3f1, v14
	v_cndmask_b32_e32 v12, v12, v1, vcc_lo
	v_cvt_f64_f32_e32 v[0:1], v0
	v_fmac_f16_e32 v11, v25, v21
	v_or_b32_e32 v20, 0x1000, v3
	v_med3_i32 v13, v13, 0, 13
	v_and_b32_e32 v17, 7, v12
	v_lshrrev_b32_e32 v12, 2, v12
	v_cvt_f32_f16_e32 v11, v11
	v_lshrrev_b32_e32 v4, 16, v4
	v_lshrrev_b32_e32 v24, v13, v20
	v_cmp_lt_i32_e32 vcc_lo, 5, v17
	v_cmp_eq_u32_e64 s0, 3, v17
	v_and_or_b32 v5, 0x1ff, v6, v5
	v_add_nc_u32_e32 v10, s5, v10
	v_lshlrev_b32_e32 v13, v13, v24
	s_delay_alu instid0(VALU_DEP_4) | instskip(SKIP_1) | instid1(VALU_DEP_2)
	s_or_b32 vcc_lo, s0, vcc_lo
	v_add_co_ci_u32_e32 v17, vcc_lo, 0, v12, vcc_lo
	v_cmp_ne_u32_e32 vcc_lo, v13, v20
	v_add_nc_u32_e32 v20, 0xfffffc10, v14
	v_mul_f16_e32 v14, v26, v21
	v_cvt_f64_f32_e32 v[11:12], v11
	v_lshrrev_b32_e32 v21, 8, v6
	v_cndmask_b32_e64 v13, 0, 1, vcc_lo
	v_cmp_ne_u32_e32 vcc_lo, 0, v5
	v_fma_f16 v14, v25, v22, -v14
	v_bfe_u32 v22, v6, 20, 11
	v_lshrrev_b32_e32 v6, 16, v6
	v_or_b32_e32 v13, v24, v13
	v_cndmask_b32_e64 v5, 0, 1, vcc_lo
	v_lshl_or_b32 v24, v20, 12, v3
	v_cmp_gt_i32_e32 vcc_lo, 1, v20
	v_sub_nc_u32_e32 v25, 0x3f1, v22
	s_delay_alu instid0(VALU_DEP_4)
	v_and_or_b32 v21, 0xffe, v21, v5
	v_cvt_f32_f16_e32 v5, v14
	v_cndmask_b32_e32 v24, v24, v13, vcc_lo
	v_cmp_ne_u32_e32 vcc_lo, 0, v18
	v_mul_f64 v[0:1], v[0:1], s[8:9]
	v_or_b32_e32 v26, 0x1000, v21
	v_cvt_f64_f32_e32 v[13:14], v5
	v_med3_i32 v5, v25, 0, 13
	v_cndmask_b32_e64 v18, 0, 1, vcc_lo
	v_and_b32_e32 v25, 7, v24
	v_cmp_gt_i32_e32 vcc_lo, 31, v16
	v_lshrrev_b32_e32 v24, 2, v24
	v_lshrrev_b32_e32 v27, v5, v26
	v_lshl_or_b32 v18, v18, 9, 0x7c00
	v_cmp_eq_u32_e64 s0, 3, v25
	v_cndmask_b32_e32 v17, 0x7c00, v17, vcc_lo
	v_cmp_lt_i32_e32 vcc_lo, 5, v25
	v_lshlrev_b32_e32 v5, v5, v27
	s_delay_alu instid0(VALU_DEP_3)
	v_cndmask_b32_e64 v16, v17, v18, s1
	s_or_b32 vcc_lo, s0, vcc_lo
	v_add_nc_u32_e32 v18, 0xfffffc10, v22
	v_add_co_ci_u32_e32 v17, vcc_lo, 0, v24, vcc_lo
	v_cmp_ne_u32_e32 vcc_lo, v5, v26
	v_mul_f64 v[11:12], v[11:12], s[8:9]
	s_delay_alu instid0(VALU_DEP_4) | instskip(SKIP_3) | instid1(VALU_DEP_2)
	v_lshl_or_b32 v22, v18, 12, v21
	v_and_or_b32 v16, 0x8000, v2, v16
	v_cndmask_b32_e64 v5, 0, 1, vcc_lo
	v_cmp_ne_u32_e32 vcc_lo, 0, v3
	v_or_b32_e32 v5, v27, v5
	v_cndmask_b32_e64 v3, 0, 1, vcc_lo
	v_cmp_gt_i32_e32 vcc_lo, 31, v20
	s_delay_alu instid0(VALU_DEP_2)
	v_lshl_or_b32 v3, v3, 9, 0x7c00
	v_cndmask_b32_e32 v17, 0x7c00, v17, vcc_lo
	v_cmp_gt_i32_e32 vcc_lo, 1, v18
	v_and_or_b32 v0, 0x1ff, v1, v0
	v_cndmask_b32_e32 v22, v22, v5, vcc_lo
	v_cmp_eq_u32_e32 vcc_lo, 0x40f, v20
	s_delay_alu instid0(VALU_DEP_3) | instskip(NEXT) | instid1(VALU_DEP_3)
	v_cmp_ne_u32_e64 s1, 0, v0
	v_lshrrev_b32_e32 v20, 2, v22
	v_cndmask_b32_e32 v5, v17, v3, vcc_lo
	v_mul_f64 v[2:3], v[13:14], s[8:9]
	v_and_b32_e32 v17, 7, v22
	v_and_b32_e32 v14, 0xffff, v16
	v_cndmask_b32_e64 v0, 0, 1, s1
	v_lshrrev_b32_e32 v16, 8, v1
	v_and_or_b32 v13, 0x8000, v4, v5
	v_cmp_lt_i32_e32 vcc_lo, 5, v17
	v_cmp_eq_u32_e64 s0, 3, v17
	v_bfe_u32 v17, v1, 20, 11
	v_and_or_b32 v0, 0xffe, v16, v0
	v_and_or_b32 v11, 0x1ff, v12, v11
	v_lshrrev_b32_e32 v25, 8, v12
	s_or_b32 vcc_lo, s0, vcc_lo
	v_sub_nc_u32_e32 v16, 0x3f1, v17
	v_add_co_ci_u32_e32 v20, vcc_lo, 0, v20, vcc_lo
	v_cmp_ne_u32_e32 vcc_lo, 0, v21
	v_or_b32_e32 v22, 0x1000, v0
	s_delay_alu instid0(VALU_DEP_4)
	v_med3_i32 v16, v16, 0, 13
	v_bfe_u32 v26, v12, 20, 11
	v_add_nc_u32_e32 v17, 0xfffffc10, v17
	v_cndmask_b32_e64 v21, 0, 1, vcc_lo
	v_cmp_gt_i32_e32 vcc_lo, 31, v18
	v_lshrrev_b32_e32 v24, v16, v22
	v_add_co_u32 v4, s1, v9, s3
	s_delay_alu instid0(VALU_DEP_4)
	v_lshl_or_b32 v21, v21, 9, 0x7c00
	v_cndmask_b32_e32 v20, 0x7c00, v20, vcc_lo
	v_cmp_ne_u32_e32 vcc_lo, 0, v11
	v_lshlrev_b32_e32 v16, v16, v24
	v_add_co_ci_u32_e64 v5, s1, s2, v10, s1
	v_lshrrev_b32_e32 v12, 16, v12
	v_cndmask_b32_e64 v11, 0, 1, vcc_lo
	v_cmp_eq_u32_e32 vcc_lo, 0x40f, v18
	v_lshl_or_b32 v13, v13, 16, v14
	s_delay_alu instid0(VALU_DEP_3)
	v_and_or_b32 v11, 0xffe, v25, v11
	v_cndmask_b32_e32 v18, v20, v21, vcc_lo
	v_sub_nc_u32_e32 v20, 0x3f1, v26
	v_and_or_b32 v2, 0x1ff, v3, v2
	v_cmp_ne_u32_e32 vcc_lo, v16, v22
	v_or_b32_e32 v21, 0x1000, v11
	v_lshrrev_b32_e32 v22, 8, v3
	v_med3_i32 v20, v20, 0, 13
	v_bfe_u32 v25, v3, 20, 11
	v_cndmask_b32_e64 v16, 0, 1, vcc_lo
	v_cmp_ne_u32_e32 vcc_lo, 0, v2
	v_and_or_b32 v6, 0x8000, v6, v18
	v_lshrrev_b32_e32 v27, v20, v21
	v_lshrrev_b32_e32 v3, 16, v3
	v_or_b32_e32 v16, v24, v16
	v_cndmask_b32_e64 v2, 0, 1, vcc_lo
	v_lshl_or_b32 v24, v17, 12, v0
	v_cmp_gt_i32_e32 vcc_lo, 1, v17
	v_lshlrev_b32_e32 v20, v20, v27
	v_and_b32_e32 v6, 0xffff, v6
	v_and_or_b32 v2, 0xffe, v22, v2
	v_sub_nc_u32_e32 v22, 0x3f1, v25
	v_cndmask_b32_e32 v16, v24, v16, vcc_lo
	v_cmp_ne_u32_e32 vcc_lo, v20, v21
	v_add_nc_u32_e32 v21, 0xfffffc10, v26
	v_or_b32_e32 v24, 0x1000, v2
	v_med3_i32 v22, v22, 0, 13
	v_and_b32_e32 v28, 7, v16
	v_cndmask_b32_e64 v20, 0, 1, vcc_lo
	v_cmp_gt_i32_e64 s1, 1, v21
	v_lshrrev_b32_e32 v16, 2, v16
	v_lshrrev_b32_e32 v26, v22, v24
	v_cmp_lt_i32_e32 vcc_lo, 5, v28
	v_or_b32_e32 v18, v27, v20
	v_lshl_or_b32 v20, v21, 12, v11
	v_cmp_eq_u32_e64 s0, 3, v28
	v_lshlrev_b32_e32 v22, v22, v26
	s_delay_alu instid0(VALU_DEP_3) | instskip(NEXT) | instid1(VALU_DEP_3)
	v_cndmask_b32_e64 v18, v20, v18, s1
	s_or_b32 vcc_lo, s0, vcc_lo
	s_delay_alu instid0(VALU_DEP_2) | instskip(SKIP_3) | instid1(VALU_DEP_4)
	v_cmp_ne_u32_e64 s1, v22, v24
	v_add_nc_u32_e32 v22, 0xfffffc10, v25
	v_add_co_ci_u32_e32 v16, vcc_lo, 0, v16, vcc_lo
	v_and_b32_e32 v24, 7, v18
	v_cndmask_b32_e64 v20, 0, 1, s1
	v_cmp_ne_u32_e32 vcc_lo, 0, v0
	v_lshl_or_b32 v25, v22, 12, v2
	v_cmp_gt_i32_e64 s1, 1, v22
	v_cmp_eq_u32_e64 s0, 3, v24
	v_or_b32_e32 v20, v26, v20
	v_cndmask_b32_e64 v0, 0, 1, vcc_lo
	v_cmp_lt_i32_e32 vcc_lo, 5, v24
	v_lshrrev_b32_e32 v18, 2, v18
	s_delay_alu instid0(VALU_DEP_4)
	v_cndmask_b32_e64 v20, v25, v20, s1
	v_cmp_gt_i32_e64 s1, 31, v17
	s_or_b32 vcc_lo, s0, vcc_lo
	v_lshl_or_b32 v0, v0, 9, 0x7c00
	v_add_co_ci_u32_e32 v18, vcc_lo, 0, v18, vcc_lo
	v_and_b32_e32 v24, 7, v20
	v_cmp_ne_u32_e32 vcc_lo, 0, v11
	v_lshrrev_b32_e32 v20, 2, v20
	v_cndmask_b32_e64 v16, 0x7c00, v16, s1
	v_cmp_gt_i32_e64 s1, 31, v21
	v_cmp_eq_u32_e64 s0, 3, v24
	v_cndmask_b32_e64 v11, 0, 1, vcc_lo
	v_cmp_lt_i32_e32 vcc_lo, 5, v24
	s_delay_alu instid0(VALU_DEP_4) | instskip(NEXT) | instid1(VALU_DEP_3)
	v_cndmask_b32_e64 v18, 0x7c00, v18, s1
	v_lshl_or_b32 v11, v11, 9, 0x7c00
	s_or_b32 vcc_lo, s0, vcc_lo
	v_add_co_ci_u32_e32 v20, vcc_lo, 0, v20, vcc_lo
	v_cmp_ne_u32_e32 vcc_lo, 0, v2
	v_cndmask_b32_e64 v2, 0, 1, vcc_lo
	v_cmp_eq_u32_e32 vcc_lo, 0x40f, v21
	s_delay_alu instid0(VALU_DEP_2) | instskip(SKIP_2) | instid1(VALU_DEP_2)
	v_lshl_or_b32 v2, v2, 9, 0x7c00
	v_cndmask_b32_e32 v11, v18, v11, vcc_lo
	v_cmp_gt_i32_e32 vcc_lo, 31, v22
	v_and_or_b32 v11, 0x8000, v12, v11
	v_cndmask_b32_e32 v18, 0x7c00, v20, vcc_lo
	v_cmp_eq_u32_e32 vcc_lo, 0x40f, v17
	v_lshrrev_b32_e32 v17, 16, v1
	v_cndmask_b32_e32 v16, v16, v0, vcc_lo
	v_cmp_eq_u32_e32 vcc_lo, 0x40f, v22
	v_mad_u64_u32 v[0:1], null, 0xfffffa80, s4, v[4:5]
	s_delay_alu instid0(VALU_DEP_3) | instskip(NEXT) | instid1(VALU_DEP_2)
	v_and_or_b32 v12, 0x8000, v17, v16
	v_dual_cndmask_b32 v2, v18, v2 :: v_dual_add_nc_u32 v1, s5, v1
	s_delay_alu instid0(VALU_DEP_1) | instskip(SKIP_3) | instid1(VALU_DEP_3)
	v_and_or_b32 v2, 0x8000, v3, v2
	v_and_b32_e32 v3, 0xffff, v11
	v_lshl_or_b32 v11, v15, 16, v23
	v_lshl_or_b32 v6, v12, 16, v6
	;; [unrolled: 1-line block ×3, first 2 shown]
	v_add_co_u32 v2, vcc_lo, v0, s3
	v_add_co_ci_u32_e32 v3, vcc_lo, s2, v1, vcc_lo
	s_clause 0x3
	global_store_b32 v[7:8], v19, off
	global_store_b32 v[9:10], v11, off
	;; [unrolled: 1-line block ×5, first 2 shown]
.LBB0_10:
	s_nop 0
	s_sendmsg sendmsg(MSG_DEALLOC_VGPRS)
	s_endpgm
	.section	.rodata,"a",@progbits
	.p2align	6, 0x0
	.amdhsa_kernel bluestein_single_fwd_len1056_dim1_half_op_CI_CI
		.amdhsa_group_segment_fixed_size 4224
		.amdhsa_private_segment_fixed_size 0
		.amdhsa_kernarg_size 104
		.amdhsa_user_sgpr_count 15
		.amdhsa_user_sgpr_dispatch_ptr 0
		.amdhsa_user_sgpr_queue_ptr 0
		.amdhsa_user_sgpr_kernarg_segment_ptr 1
		.amdhsa_user_sgpr_dispatch_id 0
		.amdhsa_user_sgpr_private_segment_size 0
		.amdhsa_wavefront_size32 1
		.amdhsa_uses_dynamic_stack 0
		.amdhsa_enable_private_segment 0
		.amdhsa_system_sgpr_workgroup_id_x 1
		.amdhsa_system_sgpr_workgroup_id_y 0
		.amdhsa_system_sgpr_workgroup_id_z 0
		.amdhsa_system_sgpr_workgroup_info 0
		.amdhsa_system_vgpr_workitem_id 0
		.amdhsa_next_free_vgpr 186
		.amdhsa_next_free_sgpr 20
		.amdhsa_reserve_vcc 1
		.amdhsa_float_round_mode_32 0
		.amdhsa_float_round_mode_16_64 0
		.amdhsa_float_denorm_mode_32 3
		.amdhsa_float_denorm_mode_16_64 3
		.amdhsa_dx10_clamp 1
		.amdhsa_ieee_mode 1
		.amdhsa_fp16_overflow 0
		.amdhsa_workgroup_processor_mode 1
		.amdhsa_memory_ordered 1
		.amdhsa_forward_progress 0
		.amdhsa_shared_vgpr_count 0
		.amdhsa_exception_fp_ieee_invalid_op 0
		.amdhsa_exception_fp_denorm_src 0
		.amdhsa_exception_fp_ieee_div_zero 0
		.amdhsa_exception_fp_ieee_overflow 0
		.amdhsa_exception_fp_ieee_underflow 0
		.amdhsa_exception_fp_ieee_inexact 0
		.amdhsa_exception_int_div_zero 0
	.end_amdhsa_kernel
	.text
.Lfunc_end0:
	.size	bluestein_single_fwd_len1056_dim1_half_op_CI_CI, .Lfunc_end0-bluestein_single_fwd_len1056_dim1_half_op_CI_CI
                                        ; -- End function
	.section	.AMDGPU.csdata,"",@progbits
; Kernel info:
; codeLenInByte = 13964
; NumSgprs: 22
; NumVgprs: 186
; ScratchSize: 0
; MemoryBound: 0
; FloatMode: 240
; IeeeMode: 1
; LDSByteSize: 4224 bytes/workgroup (compile time only)
; SGPRBlocks: 2
; VGPRBlocks: 23
; NumSGPRsForWavesPerEU: 22
; NumVGPRsForWavesPerEU: 186
; Occupancy: 8
; WaveLimiterHint : 1
; COMPUTE_PGM_RSRC2:SCRATCH_EN: 0
; COMPUTE_PGM_RSRC2:USER_SGPR: 15
; COMPUTE_PGM_RSRC2:TRAP_HANDLER: 0
; COMPUTE_PGM_RSRC2:TGID_X_EN: 1
; COMPUTE_PGM_RSRC2:TGID_Y_EN: 0
; COMPUTE_PGM_RSRC2:TGID_Z_EN: 0
; COMPUTE_PGM_RSRC2:TIDIG_COMP_CNT: 0
	.text
	.p2alignl 7, 3214868480
	.fill 96, 4, 3214868480
	.type	__hip_cuid_d0a1a291e81f155e,@object ; @__hip_cuid_d0a1a291e81f155e
	.section	.bss,"aw",@nobits
	.globl	__hip_cuid_d0a1a291e81f155e
__hip_cuid_d0a1a291e81f155e:
	.byte	0                               ; 0x0
	.size	__hip_cuid_d0a1a291e81f155e, 1

	.ident	"AMD clang version 19.0.0git (https://github.com/RadeonOpenCompute/llvm-project roc-6.4.0 25133 c7fe45cf4b819c5991fe208aaa96edf142730f1d)"
	.section	".note.GNU-stack","",@progbits
	.addrsig
	.addrsig_sym __hip_cuid_d0a1a291e81f155e
	.amdgpu_metadata
---
amdhsa.kernels:
  - .args:
      - .actual_access:  read_only
        .address_space:  global
        .offset:         0
        .size:           8
        .value_kind:     global_buffer
      - .actual_access:  read_only
        .address_space:  global
        .offset:         8
        .size:           8
        .value_kind:     global_buffer
      - .actual_access:  read_only
        .address_space:  global
        .offset:         16
        .size:           8
        .value_kind:     global_buffer
      - .actual_access:  read_only
        .address_space:  global
        .offset:         24
        .size:           8
        .value_kind:     global_buffer
      - .actual_access:  read_only
        .address_space:  global
        .offset:         32
        .size:           8
        .value_kind:     global_buffer
      - .offset:         40
        .size:           8
        .value_kind:     by_value
      - .address_space:  global
        .offset:         48
        .size:           8
        .value_kind:     global_buffer
      - .address_space:  global
        .offset:         56
        .size:           8
        .value_kind:     global_buffer
      - .address_space:  global
        .offset:         64
        .size:           8
        .value_kind:     global_buffer
      - .address_space:  global
        .offset:         72
        .size:           8
        .value_kind:     global_buffer
      - .offset:         80
        .size:           4
        .value_kind:     by_value
      - .address_space:  global
        .offset:         88
        .size:           8
        .value_kind:     global_buffer
      - .address_space:  global
        .offset:         96
        .size:           8
        .value_kind:     global_buffer
    .group_segment_fixed_size: 4224
    .kernarg_segment_align: 8
    .kernarg_segment_size: 104
    .language:       OpenCL C
    .language_version:
      - 2
      - 0
    .max_flat_workgroup_size: 176
    .name:           bluestein_single_fwd_len1056_dim1_half_op_CI_CI
    .private_segment_fixed_size: 0
    .sgpr_count:     22
    .sgpr_spill_count: 0
    .symbol:         bluestein_single_fwd_len1056_dim1_half_op_CI_CI.kd
    .uniform_work_group_size: 1
    .uses_dynamic_stack: false
    .vgpr_count:     186
    .vgpr_spill_count: 0
    .wavefront_size: 32
    .workgroup_processor_mode: 1
amdhsa.target:   amdgcn-amd-amdhsa--gfx1100
amdhsa.version:
  - 1
  - 2
...

	.end_amdgpu_metadata
